;; amdgpu-corpus repo=ROCm/composable_kernel kind=compiled arch=gfx90a opt=O3
	.text
	.amdgcn_target "amdgcn-amd-amdhsa--gfx90a"
	.amdhsa_code_object_version 6
	.section	.text._ZN2ckL12flush_icacheEv,"axG",@progbits,_ZN2ckL12flush_icacheEv,comdat
	.globl	_ZN2ckL12flush_icacheEv         ; -- Begin function _ZN2ckL12flush_icacheEv
	.p2align	8
	.type	_ZN2ckL12flush_icacheEv,@function
_ZN2ckL12flush_icacheEv:                ; @_ZN2ckL12flush_icacheEv
; %bb.0:
	;;#ASMSTART
	s_icache_inv 
	s_nop 0 
	s_nop 0 
	;; [unrolled: 1-line block ×16, first 2 shown]
	
	;;#ASMEND
	s_endpgm
	.section	.rodata,"a",@progbits
	.p2align	6, 0x0
	.amdhsa_kernel _ZN2ckL12flush_icacheEv
		.amdhsa_group_segment_fixed_size 0
		.amdhsa_private_segment_fixed_size 0
		.amdhsa_kernarg_size 0
		.amdhsa_user_sgpr_count 4
		.amdhsa_user_sgpr_private_segment_buffer 1
		.amdhsa_user_sgpr_dispatch_ptr 0
		.amdhsa_user_sgpr_queue_ptr 0
		.amdhsa_user_sgpr_kernarg_segment_ptr 0
		.amdhsa_user_sgpr_dispatch_id 0
		.amdhsa_user_sgpr_flat_scratch_init 0
		.amdhsa_user_sgpr_kernarg_preload_length 0
		.amdhsa_user_sgpr_kernarg_preload_offset 0
		.amdhsa_user_sgpr_private_segment_size 0
		.amdhsa_uses_dynamic_stack 0
		.amdhsa_system_sgpr_private_segment_wavefront_offset 0
		.amdhsa_system_sgpr_workgroup_id_x 1
		.amdhsa_system_sgpr_workgroup_id_y 0
		.amdhsa_system_sgpr_workgroup_id_z 0
		.amdhsa_system_sgpr_workgroup_info 0
		.amdhsa_system_vgpr_workitem_id 0
		.amdhsa_next_free_vgpr 1
		.amdhsa_next_free_sgpr 0
		.amdhsa_accum_offset 4
		.amdhsa_reserve_vcc 0
		.amdhsa_reserve_flat_scratch 0
		.amdhsa_float_round_mode_32 0
		.amdhsa_float_round_mode_16_64 0
		.amdhsa_float_denorm_mode_32 3
		.amdhsa_float_denorm_mode_16_64 3
		.amdhsa_dx10_clamp 1
		.amdhsa_ieee_mode 1
		.amdhsa_fp16_overflow 0
		.amdhsa_tg_split 0
		.amdhsa_exception_fp_ieee_invalid_op 0
		.amdhsa_exception_fp_denorm_src 0
		.amdhsa_exception_fp_ieee_div_zero 0
		.amdhsa_exception_fp_ieee_overflow 0
		.amdhsa_exception_fp_ieee_underflow 0
		.amdhsa_exception_fp_ieee_inexact 0
		.amdhsa_exception_int_div_zero 0
	.end_amdhsa_kernel
	.section	.text._ZN2ckL12flush_icacheEv,"axG",@progbits,_ZN2ckL12flush_icacheEv,comdat
.Lfunc_end0:
	.size	_ZN2ckL12flush_icacheEv, .Lfunc_end0-_ZN2ckL12flush_icacheEv
                                        ; -- End function
	.section	.AMDGPU.csdata,"",@progbits
; Kernel info:
; codeLenInByte = 140
; NumSgprs: 4
; NumVgprs: 0
; NumAgprs: 0
; TotalNumVgprs: 0
; ScratchSize: 0
; MemoryBound: 0
; FloatMode: 240
; IeeeMode: 1
; LDSByteSize: 0 bytes/workgroup (compile time only)
; SGPRBlocks: 0
; VGPRBlocks: 0
; NumSGPRsForWavesPerEU: 4
; NumVGPRsForWavesPerEU: 1
; AccumOffset: 4
; Occupancy: 8
; WaveLimiterHint : 0
; COMPUTE_PGM_RSRC2:SCRATCH_EN: 0
; COMPUTE_PGM_RSRC2:USER_SGPR: 4
; COMPUTE_PGM_RSRC2:TRAP_HANDLER: 0
; COMPUTE_PGM_RSRC2:TGID_X_EN: 1
; COMPUTE_PGM_RSRC2:TGID_Y_EN: 0
; COMPUTE_PGM_RSRC2:TGID_Z_EN: 0
; COMPUTE_PGM_RSRC2:TIDIG_COMP_CNT: 0
; COMPUTE_PGM_RSRC3_GFX90A:ACCUM_OFFSET: 0
; COMPUTE_PGM_RSRC3_GFX90A:TG_SPLIT: 0
	.section	.text._ZN2ck51kernel_gemm_multiple_d_xdl_cshuffle_lds_direct_loadINS_48GridwiseGemmMultipleD_Xdl_CShuffle_LdsDirectLoadINS_13tensor_layout4gemm8RowMajorENS3_11ColumnMajorENS_5TupleIJS4_S4_EEES4_fffffNS6_IJffEEEfNS_16tensor_operation12element_wise11PassThroughESB_NSA_14AddAddFastGeluELNS_25InMemoryDataOperationEnumE0ELNS9_6device18GemmSpecializationE0ELi1ELi64ELi64ELi64ELi64ELi8ELi8ELi32ELi32ELi2ELi2ENS_8SequenceIJLi8ELi1ELi8EEEENSG_IJLi1ELi0ELi2EEEELi2ELi1ELi0ESH_SI_Li2ELi1ELi0ELi1ELi1ENSG_IJLi1ELi8ELi1ELi8EEEELi4ELNS_13LoopSchedulerE0ELNS_15PipelineVersionE2EfEEffNS6_IJPKfSO_EEEfSB_SB_SC_NS_16TensorDescriptorINS6_IJNS_5EmbedINS6_IJiiEEENS6_IJiNS_17integral_constantIiLi1EEEEEELb0EEENS_11PassThroughIiEESY_NS_7UnMergeINS6_IJiNST_IiLi8EEEEEELb0EEESY_EEENS6_IJNSG_IJLi0EEEENSG_IJLi1EEEENSG_IJLi2EEEENSG_IJLi4EEEENSG_IJLi3EEEEEEENS6_IJNSG_IJLi1ELi2EEEES18_S17_NSG_IJLi5ELi6EEEENSG_IJLi7EEEEEEENSG_IJLi5ELi7ELi6EEEElEES1F_NS6_IJNSQ_INS6_IJSW_SY_SY_NSZ_INS6_IJiNST_IiLi64EEEEEELb0EEES1I_EEENS6_IJS14_S15_S16_S18_S17_EEENS6_IJS1A_S18_S17_S1B_NSG_IJLi7ELi8EEEEEEENSG_IJLi5ELi6ELi7ELi8EEEElEES1O_EEES1O_NS_31BlockToCTileMap_M00_N0_M01AdaptILi64ELi64ENSQ_INS6_IJSW_SY_SY_EEENS6_IJS14_S15_S16_EEENS6_IJS1A_S18_S17_EEENSG_IJLi3ELi4EEEElEEiEELb1ELi2EEEvPKT0_PKT1_T2_PT3_T4_T5_T6_T7_T8_T9_T10_T11_,"axG",@progbits,_ZN2ck51kernel_gemm_multiple_d_xdl_cshuffle_lds_direct_loadINS_48GridwiseGemmMultipleD_Xdl_CShuffle_LdsDirectLoadINS_13tensor_layout4gemm8RowMajorENS3_11ColumnMajorENS_5TupleIJS4_S4_EEES4_fffffNS6_IJffEEEfNS_16tensor_operation12element_wise11PassThroughESB_NSA_14AddAddFastGeluELNS_25InMemoryDataOperationEnumE0ELNS9_6device18GemmSpecializationE0ELi1ELi64ELi64ELi64ELi64ELi8ELi8ELi32ELi32ELi2ELi2ENS_8SequenceIJLi8ELi1ELi8EEEENSG_IJLi1ELi0ELi2EEEELi2ELi1ELi0ESH_SI_Li2ELi1ELi0ELi1ELi1ENSG_IJLi1ELi8ELi1ELi8EEEELi4ELNS_13LoopSchedulerE0ELNS_15PipelineVersionE2EfEEffNS6_IJPKfSO_EEEfSB_SB_SC_NS_16TensorDescriptorINS6_IJNS_5EmbedINS6_IJiiEEENS6_IJiNS_17integral_constantIiLi1EEEEEELb0EEENS_11PassThroughIiEESY_NS_7UnMergeINS6_IJiNST_IiLi8EEEEEELb0EEESY_EEENS6_IJNSG_IJLi0EEEENSG_IJLi1EEEENSG_IJLi2EEEENSG_IJLi4EEEENSG_IJLi3EEEEEEENS6_IJNSG_IJLi1ELi2EEEES18_S17_NSG_IJLi5ELi6EEEENSG_IJLi7EEEEEEENSG_IJLi5ELi7ELi6EEEElEES1F_NS6_IJNSQ_INS6_IJSW_SY_SY_NSZ_INS6_IJiNST_IiLi64EEEEEELb0EEES1I_EEENS6_IJS14_S15_S16_S18_S17_EEENS6_IJS1A_S18_S17_S1B_NSG_IJLi7ELi8EEEEEEENSG_IJLi5ELi6ELi7ELi8EEEElEES1O_EEES1O_NS_31BlockToCTileMap_M00_N0_M01AdaptILi64ELi64ENSQ_INS6_IJSW_SY_SY_EEENS6_IJS14_S15_S16_EEENS6_IJS1A_S18_S17_EEENSG_IJLi3ELi4EEEElEEiEELb1ELi2EEEvPKT0_PKT1_T2_PT3_T4_T5_T6_T7_T8_T9_T10_T11_,comdat
	.protected	_ZN2ck51kernel_gemm_multiple_d_xdl_cshuffle_lds_direct_loadINS_48GridwiseGemmMultipleD_Xdl_CShuffle_LdsDirectLoadINS_13tensor_layout4gemm8RowMajorENS3_11ColumnMajorENS_5TupleIJS4_S4_EEES4_fffffNS6_IJffEEEfNS_16tensor_operation12element_wise11PassThroughESB_NSA_14AddAddFastGeluELNS_25InMemoryDataOperationEnumE0ELNS9_6device18GemmSpecializationE0ELi1ELi64ELi64ELi64ELi64ELi8ELi8ELi32ELi32ELi2ELi2ENS_8SequenceIJLi8ELi1ELi8EEEENSG_IJLi1ELi0ELi2EEEELi2ELi1ELi0ESH_SI_Li2ELi1ELi0ELi1ELi1ENSG_IJLi1ELi8ELi1ELi8EEEELi4ELNS_13LoopSchedulerE0ELNS_15PipelineVersionE2EfEEffNS6_IJPKfSO_EEEfSB_SB_SC_NS_16TensorDescriptorINS6_IJNS_5EmbedINS6_IJiiEEENS6_IJiNS_17integral_constantIiLi1EEEEEELb0EEENS_11PassThroughIiEESY_NS_7UnMergeINS6_IJiNST_IiLi8EEEEEELb0EEESY_EEENS6_IJNSG_IJLi0EEEENSG_IJLi1EEEENSG_IJLi2EEEENSG_IJLi4EEEENSG_IJLi3EEEEEEENS6_IJNSG_IJLi1ELi2EEEES18_S17_NSG_IJLi5ELi6EEEENSG_IJLi7EEEEEEENSG_IJLi5ELi7ELi6EEEElEES1F_NS6_IJNSQ_INS6_IJSW_SY_SY_NSZ_INS6_IJiNST_IiLi64EEEEEELb0EEES1I_EEENS6_IJS14_S15_S16_S18_S17_EEENS6_IJS1A_S18_S17_S1B_NSG_IJLi7ELi8EEEEEEENSG_IJLi5ELi6ELi7ELi8EEEElEES1O_EEES1O_NS_31BlockToCTileMap_M00_N0_M01AdaptILi64ELi64ENSQ_INS6_IJSW_SY_SY_EEENS6_IJS14_S15_S16_EEENS6_IJS1A_S18_S17_EEENSG_IJLi3ELi4EEEElEEiEELb1ELi2EEEvPKT0_PKT1_T2_PT3_T4_T5_T6_T7_T8_T9_T10_T11_ ; -- Begin function _ZN2ck51kernel_gemm_multiple_d_xdl_cshuffle_lds_direct_loadINS_48GridwiseGemmMultipleD_Xdl_CShuffle_LdsDirectLoadINS_13tensor_layout4gemm8RowMajorENS3_11ColumnMajorENS_5TupleIJS4_S4_EEES4_fffffNS6_IJffEEEfNS_16tensor_operation12element_wise11PassThroughESB_NSA_14AddAddFastGeluELNS_25InMemoryDataOperationEnumE0ELNS9_6device18GemmSpecializationE0ELi1ELi64ELi64ELi64ELi64ELi8ELi8ELi32ELi32ELi2ELi2ENS_8SequenceIJLi8ELi1ELi8EEEENSG_IJLi1ELi0ELi2EEEELi2ELi1ELi0ESH_SI_Li2ELi1ELi0ELi1ELi1ENSG_IJLi1ELi8ELi1ELi8EEEELi4ELNS_13LoopSchedulerE0ELNS_15PipelineVersionE2EfEEffNS6_IJPKfSO_EEEfSB_SB_SC_NS_16TensorDescriptorINS6_IJNS_5EmbedINS6_IJiiEEENS6_IJiNS_17integral_constantIiLi1EEEEEELb0EEENS_11PassThroughIiEESY_NS_7UnMergeINS6_IJiNST_IiLi8EEEEEELb0EEESY_EEENS6_IJNSG_IJLi0EEEENSG_IJLi1EEEENSG_IJLi2EEEENSG_IJLi4EEEENSG_IJLi3EEEEEEENS6_IJNSG_IJLi1ELi2EEEES18_S17_NSG_IJLi5ELi6EEEENSG_IJLi7EEEEEEENSG_IJLi5ELi7ELi6EEEElEES1F_NS6_IJNSQ_INS6_IJSW_SY_SY_NSZ_INS6_IJiNST_IiLi64EEEEEELb0EEES1I_EEENS6_IJS14_S15_S16_S18_S17_EEENS6_IJS1A_S18_S17_S1B_NSG_IJLi7ELi8EEEEEEENSG_IJLi5ELi6ELi7ELi8EEEElEES1O_EEES1O_NS_31BlockToCTileMap_M00_N0_M01AdaptILi64ELi64ENSQ_INS6_IJSW_SY_SY_EEENS6_IJS14_S15_S16_EEENS6_IJS1A_S18_S17_EEENSG_IJLi3ELi4EEEElEEiEELb1ELi2EEEvPKT0_PKT1_T2_PT3_T4_T5_T6_T7_T8_T9_T10_T11_
	.globl	_ZN2ck51kernel_gemm_multiple_d_xdl_cshuffle_lds_direct_loadINS_48GridwiseGemmMultipleD_Xdl_CShuffle_LdsDirectLoadINS_13tensor_layout4gemm8RowMajorENS3_11ColumnMajorENS_5TupleIJS4_S4_EEES4_fffffNS6_IJffEEEfNS_16tensor_operation12element_wise11PassThroughESB_NSA_14AddAddFastGeluELNS_25InMemoryDataOperationEnumE0ELNS9_6device18GemmSpecializationE0ELi1ELi64ELi64ELi64ELi64ELi8ELi8ELi32ELi32ELi2ELi2ENS_8SequenceIJLi8ELi1ELi8EEEENSG_IJLi1ELi0ELi2EEEELi2ELi1ELi0ESH_SI_Li2ELi1ELi0ELi1ELi1ENSG_IJLi1ELi8ELi1ELi8EEEELi4ELNS_13LoopSchedulerE0ELNS_15PipelineVersionE2EfEEffNS6_IJPKfSO_EEEfSB_SB_SC_NS_16TensorDescriptorINS6_IJNS_5EmbedINS6_IJiiEEENS6_IJiNS_17integral_constantIiLi1EEEEEELb0EEENS_11PassThroughIiEESY_NS_7UnMergeINS6_IJiNST_IiLi8EEEEEELb0EEESY_EEENS6_IJNSG_IJLi0EEEENSG_IJLi1EEEENSG_IJLi2EEEENSG_IJLi4EEEENSG_IJLi3EEEEEEENS6_IJNSG_IJLi1ELi2EEEES18_S17_NSG_IJLi5ELi6EEEENSG_IJLi7EEEEEEENSG_IJLi5ELi7ELi6EEEElEES1F_NS6_IJNSQ_INS6_IJSW_SY_SY_NSZ_INS6_IJiNST_IiLi64EEEEEELb0EEES1I_EEENS6_IJS14_S15_S16_S18_S17_EEENS6_IJS1A_S18_S17_S1B_NSG_IJLi7ELi8EEEEEEENSG_IJLi5ELi6ELi7ELi8EEEElEES1O_EEES1O_NS_31BlockToCTileMap_M00_N0_M01AdaptILi64ELi64ENSQ_INS6_IJSW_SY_SY_EEENS6_IJS14_S15_S16_EEENS6_IJS1A_S18_S17_EEENSG_IJLi3ELi4EEEElEEiEELb1ELi2EEEvPKT0_PKT1_T2_PT3_T4_T5_T6_T7_T8_T9_T10_T11_
	.p2align	8
	.type	_ZN2ck51kernel_gemm_multiple_d_xdl_cshuffle_lds_direct_loadINS_48GridwiseGemmMultipleD_Xdl_CShuffle_LdsDirectLoadINS_13tensor_layout4gemm8RowMajorENS3_11ColumnMajorENS_5TupleIJS4_S4_EEES4_fffffNS6_IJffEEEfNS_16tensor_operation12element_wise11PassThroughESB_NSA_14AddAddFastGeluELNS_25InMemoryDataOperationEnumE0ELNS9_6device18GemmSpecializationE0ELi1ELi64ELi64ELi64ELi64ELi8ELi8ELi32ELi32ELi2ELi2ENS_8SequenceIJLi8ELi1ELi8EEEENSG_IJLi1ELi0ELi2EEEELi2ELi1ELi0ESH_SI_Li2ELi1ELi0ELi1ELi1ENSG_IJLi1ELi8ELi1ELi8EEEELi4ELNS_13LoopSchedulerE0ELNS_15PipelineVersionE2EfEEffNS6_IJPKfSO_EEEfSB_SB_SC_NS_16TensorDescriptorINS6_IJNS_5EmbedINS6_IJiiEEENS6_IJiNS_17integral_constantIiLi1EEEEEELb0EEENS_11PassThroughIiEESY_NS_7UnMergeINS6_IJiNST_IiLi8EEEEEELb0EEESY_EEENS6_IJNSG_IJLi0EEEENSG_IJLi1EEEENSG_IJLi2EEEENSG_IJLi4EEEENSG_IJLi3EEEEEEENS6_IJNSG_IJLi1ELi2EEEES18_S17_NSG_IJLi5ELi6EEEENSG_IJLi7EEEEEEENSG_IJLi5ELi7ELi6EEEElEES1F_NS6_IJNSQ_INS6_IJSW_SY_SY_NSZ_INS6_IJiNST_IiLi64EEEEEELb0EEES1I_EEENS6_IJS14_S15_S16_S18_S17_EEENS6_IJS1A_S18_S17_S1B_NSG_IJLi7ELi8EEEEEEENSG_IJLi5ELi6ELi7ELi8EEEElEES1O_EEES1O_NS_31BlockToCTileMap_M00_N0_M01AdaptILi64ELi64ENSQ_INS6_IJSW_SY_SY_EEENS6_IJS14_S15_S16_EEENS6_IJS1A_S18_S17_EEENSG_IJLi3ELi4EEEElEEiEELb1ELi2EEEvPKT0_PKT1_T2_PT3_T4_T5_T6_T7_T8_T9_T10_T11_,@function
_ZN2ck51kernel_gemm_multiple_d_xdl_cshuffle_lds_direct_loadINS_48GridwiseGemmMultipleD_Xdl_CShuffle_LdsDirectLoadINS_13tensor_layout4gemm8RowMajorENS3_11ColumnMajorENS_5TupleIJS4_S4_EEES4_fffffNS6_IJffEEEfNS_16tensor_operation12element_wise11PassThroughESB_NSA_14AddAddFastGeluELNS_25InMemoryDataOperationEnumE0ELNS9_6device18GemmSpecializationE0ELi1ELi64ELi64ELi64ELi64ELi8ELi8ELi32ELi32ELi2ELi2ENS_8SequenceIJLi8ELi1ELi8EEEENSG_IJLi1ELi0ELi2EEEELi2ELi1ELi0ESH_SI_Li2ELi1ELi0ELi1ELi1ENSG_IJLi1ELi8ELi1ELi8EEEELi4ELNS_13LoopSchedulerE0ELNS_15PipelineVersionE2EfEEffNS6_IJPKfSO_EEEfSB_SB_SC_NS_16TensorDescriptorINS6_IJNS_5EmbedINS6_IJiiEEENS6_IJiNS_17integral_constantIiLi1EEEEEELb0EEENS_11PassThroughIiEESY_NS_7UnMergeINS6_IJiNST_IiLi8EEEEEELb0EEESY_EEENS6_IJNSG_IJLi0EEEENSG_IJLi1EEEENSG_IJLi2EEEENSG_IJLi4EEEENSG_IJLi3EEEEEEENS6_IJNSG_IJLi1ELi2EEEES18_S17_NSG_IJLi5ELi6EEEENSG_IJLi7EEEEEEENSG_IJLi5ELi7ELi6EEEElEES1F_NS6_IJNSQ_INS6_IJSW_SY_SY_NSZ_INS6_IJiNST_IiLi64EEEEEELb0EEES1I_EEENS6_IJS14_S15_S16_S18_S17_EEENS6_IJS1A_S18_S17_S1B_NSG_IJLi7ELi8EEEEEEENSG_IJLi5ELi6ELi7ELi8EEEElEES1O_EEES1O_NS_31BlockToCTileMap_M00_N0_M01AdaptILi64ELi64ENSQ_INS6_IJSW_SY_SY_EEENS6_IJS14_S15_S16_EEENS6_IJS1A_S18_S17_EEENSG_IJLi3ELi4EEEElEEiEELb1ELi2EEEvPKT0_PKT1_T2_PT3_T4_T5_T6_T7_T8_T9_T10_T11_: ; @_ZN2ck51kernel_gemm_multiple_d_xdl_cshuffle_lds_direct_loadINS_48GridwiseGemmMultipleD_Xdl_CShuffle_LdsDirectLoadINS_13tensor_layout4gemm8RowMajorENS3_11ColumnMajorENS_5TupleIJS4_S4_EEES4_fffffNS6_IJffEEEfNS_16tensor_operation12element_wise11PassThroughESB_NSA_14AddAddFastGeluELNS_25InMemoryDataOperationEnumE0ELNS9_6device18GemmSpecializationE0ELi1ELi64ELi64ELi64ELi64ELi8ELi8ELi32ELi32ELi2ELi2ENS_8SequenceIJLi8ELi1ELi8EEEENSG_IJLi1ELi0ELi2EEEELi2ELi1ELi0ESH_SI_Li2ELi1ELi0ELi1ELi1ENSG_IJLi1ELi8ELi1ELi8EEEELi4ELNS_13LoopSchedulerE0ELNS_15PipelineVersionE2EfEEffNS6_IJPKfSO_EEEfSB_SB_SC_NS_16TensorDescriptorINS6_IJNS_5EmbedINS6_IJiiEEENS6_IJiNS_17integral_constantIiLi1EEEEEELb0EEENS_11PassThroughIiEESY_NS_7UnMergeINS6_IJiNST_IiLi8EEEEEELb0EEESY_EEENS6_IJNSG_IJLi0EEEENSG_IJLi1EEEENSG_IJLi2EEEENSG_IJLi4EEEENSG_IJLi3EEEEEEENS6_IJNSG_IJLi1ELi2EEEES18_S17_NSG_IJLi5ELi6EEEENSG_IJLi7EEEEEEENSG_IJLi5ELi7ELi6EEEElEES1F_NS6_IJNSQ_INS6_IJSW_SY_SY_NSZ_INS6_IJiNST_IiLi64EEEEEELb0EEES1I_EEENS6_IJS14_S15_S16_S18_S17_EEENS6_IJS1A_S18_S17_S1B_NSG_IJLi7ELi8EEEEEEENSG_IJLi5ELi6ELi7ELi8EEEElEES1O_EEES1O_NS_31BlockToCTileMap_M00_N0_M01AdaptILi64ELi64ENSQ_INS6_IJSW_SY_SY_EEENS6_IJS14_S15_S16_EEENS6_IJS1A_S18_S17_EEENSG_IJLi3ELi4EEEElEEiEELb1ELi2EEEvPKT0_PKT1_T2_PT3_T4_T5_T6_T7_T8_T9_T10_T11_
; %bb.0:
	s_mov_b64 s[90:91], s[2:3]
	s_mov_b64 s[88:89], s[0:1]
	s_add_u32 s88, s88, s7
	s_load_dwordx8 s[8:15], s[4:5], 0x0
	s_load_dwordx2 s[16:17], s[4:5], 0x20
	s_load_dword s28, s[4:5], 0x38
	s_load_dword s21, s[4:5], 0x48
	s_load_dword s7, s[4:5], 0x60
	s_load_dword s29, s[4:5], 0x70
	s_load_dword s20, s[4:5], 0x98
	s_load_dword s27, s[4:5], 0xa8
	s_load_dwordx2 s[24:25], s[4:5], 0xd8
	s_load_dword s26, s[4:5], 0xe8
	s_load_dwordx2 s[18:19], s[4:5], 0x118
	s_waitcnt lgkmcnt(0)
	s_load_dword s25, s[4:5], 0x128
	s_load_dwordx4 s[0:3], s[4:5], 0x158
	s_addc_u32 s89, s89, 0
	s_waitcnt lgkmcnt(0)
	s_load_dword s1, s[4:5], 0x168
                                        ; kill: killed $sgpr4_sgpr5
	v_mov_b32_e32 v5, v0
	s_ashr_i32 s19, s6, 31
	s_add_i32 s3, s3, 63
	s_add_i32 s2, s2, 63
	s_ashr_i32 s4, s2, 31
	s_ashr_i32 s5, s3, 31
	s_lshr_b32 s4, s4, 26
	s_lshr_b32 s5, s5, 26
	s_add_i32 s2, s2, s4
	s_add_i32 s3, s3, s5
	s_ashr_i32 s4, s2, 6
	s_ashr_i32 s3, s3, 6
	s_mul_i32 s5, s3, s4
	s_abs_i32 s5, s5
	v_cvt_f32_u32_e32 v0, s5
	s_sub_i32 s22, 0, s5
	s_abs_i32 s6, s6
	s_mov_b32 m0, 0
	v_rcp_iflag_f32_e32 v0, v0
	v_and_b32_e32 v1, 32, v5
	v_and_b32_e32 v6, 31, v5
	v_lshlrev_b32_e32 v1, 2, v1
	v_mul_f32_e32 v0, 0x4f7ffffe, v0
	v_cvt_u32_f32_e32 v0, v0
	v_lshl_or_b32 v195, v6, 8, v1
	v_mov_b32_e32 v18, 0
	v_mov_b32_e32 v80, 0x3c0
	v_readfirstlane_b32 s23, v0
	s_mul_i32 s22, s22, s23
	s_mul_hi_u32 s22, s23, s22
	s_add_i32 s23, s23, s22
	s_mul_hi_u32 s22, s6, s23
	s_mul_i32 s22, s22, s5
	s_sub_i32 s6, s6, s22
	s_sub_i32 s22, s6, s5
	s_cmp_ge_u32 s6, s5
	s_cselect_b32 s6, s22, s6
	s_sub_i32 s22, s6, s5
	s_cmp_ge_u32 s6, s5
	s_cselect_b32 s5, s22, s6
	s_abs_i32 s22, s3
	v_cvt_f32_u32_e32 v0, s22
	s_sub_i32 s23, 0, s22
	s_xor_b32 s5, s5, s19
	s_sub_i32 s5, s5, s19
	v_rcp_iflag_f32_e32 v0, v0
	s_abs_i32 s19, s5
	s_xor_b32 s6, s5, s3
	s_ashr_i32 s6, s6, 31
	v_mul_f32_e32 v0, 0x4f7ffffe, v0
	v_cvt_u32_f32_e32 v0, v0
	v_mov_b32_e32 v81, 0x400
	v_mov_b32_e32 v82, 0x440
	;; [unrolled: 1-line block ×3, first 2 shown]
	v_readfirstlane_b32 s30, v0
	s_mul_i32 s23, s23, s30
	s_mul_hi_u32 s23, s30, s23
	s_add_i32 s30, s30, s23
	s_mul_hi_u32 s23, s19, s30
	s_mul_i32 s30, s23, s22
	s_sub_i32 s19, s19, s30
	s_add_i32 s30, s23, 1
	s_sub_i32 s31, s19, s22
	s_cmp_ge_u32 s19, s22
	s_cselect_b32 s23, s30, s23
	s_cselect_b32 s19, s31, s19
	s_add_i32 s30, s23, 1
	s_cmp_ge_u32 s19, s22
	s_cselect_b32 s19, s30, s23
	s_waitcnt lgkmcnt(0)
	s_abs_i32 s22, s1
	v_cvt_f32_u32_e32 v0, s22
	s_sub_i32 s23, 0, s22
	s_xor_b32 s19, s19, s6
	s_sub_i32 s6, s19, s6
	v_rcp_iflag_f32_e32 v0, v0
	s_abs_i32 s19, s4
	s_ashr_i32 s2, s2, 31
	v_mov_b32_e32 v84, 0x4c0
	v_mul_f32_e32 v0, 0x4f7ffffe, v0
	v_cvt_u32_f32_e32 v0, v0
	v_mov_b32_e32 v85, 0x500
	v_mov_b32_e32 v86, 0x540
	;; [unrolled: 1-line block ×3, first 2 shown]
	v_readfirstlane_b32 s30, v0
	s_mul_i32 s23, s23, s30
	s_mul_hi_u32 s23, s30, s23
	s_add_i32 s30, s30, s23
	s_mul_hi_u32 s23, s19, s30
	s_mul_i32 s23, s23, s22
	s_sub_i32 s19, s19, s23
	s_sub_i32 s23, s19, s22
	s_cmp_ge_u32 s19, s22
	s_cselect_b32 s19, s23, s19
	s_sub_i32 s23, s19, s22
	s_cmp_ge_u32 s19, s22
	s_cselect_b32 s19, s23, s19
	s_xor_b32 s19, s19, s2
	s_sub_i32 s2, s19, s2
	s_sub_i32 s4, s4, s2
	s_cmp_lt_i32 s6, s4
	s_cselect_b32 s1, s1, s2
	s_mul_i32 s2, s6, s3
	s_sub_i32 s2, s5, s2
	s_abs_i32 s5, s6
	s_mul_hi_u32 s19, s5, s30
	s_mul_i32 s19, s19, s22
	s_sub_i32 s5, s5, s19
	s_ashr_i32 s4, s6, 31
	s_sub_i32 s19, s5, s22
	s_cmp_ge_u32 s5, s22
	s_cselect_b32 s5, s19, s5
	s_sub_i32 s19, s5, s22
	s_cmp_ge_u32 s5, s22
	s_cselect_b32 s5, s19, s5
	s_abs_i32 s19, s1
	v_cvt_f32_u32_e32 v0, s19
	s_xor_b32 s5, s5, s4
	s_sub_i32 s4, s5, s4
	s_sub_i32 s22, 0, s19
	v_rcp_iflag_f32_e32 v0, v0
	s_mul_i32 s3, s4, s3
	s_add_i32 s3, s3, s2
	s_abs_i32 s5, s3
	v_mul_f32_e32 v0, 0x4f7ffffe, v0
	v_cvt_u32_f32_e32 v0, v0
	s_xor_b32 s2, s3, s1
	s_ashr_i32 s2, s2, 31
	v_mov_b32_e32 v88, 0x5c0
	v_readfirstlane_b32 s23, v0
	s_mul_i32 s22, s22, s23
	s_mul_hi_u32 s22, s23, s22
	s_add_i32 s23, s23, s22
	s_mul_hi_u32 s22, s5, s23
	s_mul_i32 s23, s22, s19
	s_sub_i32 s5, s5, s23
	s_add_i32 s23, s22, 1
	s_sub_i32 s30, s5, s19
	s_cmp_ge_u32 s5, s19
	s_cselect_b32 s22, s23, s22
	s_cselect_b32 s5, s30, s5
	s_add_i32 s23, s22, 1
	s_cmp_ge_u32 s5, s19
	s_cselect_b32 s5, s23, s22
	s_xor_b32 s5, s5, s2
	s_sub_i32 s2, s5, s2
	s_mul_i32 s1, s2, s1
	s_sub_i32 s1, s3, s1
	s_sub_i32 s3, s6, s4
	s_add_i32 s1, s3, s1
	s_lshl_b32 s19, s1, 6
	s_mul_i32 s30, s19, s28
	v_add_u32_e32 v2, s30, v5
	s_lshl_b32 s6, s7, 2
	s_mov_b32 s7, 0x20000
	s_mov_b32 s4, s8
	s_mov_b32 s5, s9
	v_lshlrev_b32_e32 v4, 2, v2
	v_add_u32_e32 v2, s28, v2
	buffer_load_dword v4, s[4:7], 0 offen lds
	v_lshlrev_b32_e32 v4, 2, v2
	s_movk_i32 m0, 0x100
	v_add_u32_e32 v2, s28, v2
	buffer_load_dword v4, s[4:7], 0 offen lds
	v_lshlrev_b32_e32 v4, 2, v2
	s_movk_i32 m0, 0x200
	;; [unrolled: 4-line block ×60, first 2 shown]
	v_add_u32_e32 v2, s28, v2
	s_lshl_b32 s2, s2, 6
	s_ashr_i32 s3, s21, 31
	buffer_load_dword v4, s[4:7], 0 offen lds
	v_lshlrev_b32_e32 v4, 2, v2
	s_movk_i32 m0, 0x3d00
	v_add_u32_e32 v2, s28, v2
	s_mul_i32 s31, s2, s29
	s_lshr_b32 s3, s3, 29
	buffer_load_dword v4, s[4:7], 0 offen lds
	v_lshlrev_b32_e32 v4, 2, v2
	s_movk_i32 m0, 0x3e00
	v_add_u32_e32 v3, s31, v5
	s_add_i32 s21, s21, s3
	buffer_load_dword v4, s[4:7], 0 offen lds
	v_add_lshl_u32 v2, v2, s28, 2
	s_movk_i32 m0, 0x3f00
	s_add_i32 s3, 0, 0x4000
	s_ashr_i32 s33, s21, 3
	buffer_load_dword v2, s[4:7], 0 offen lds
	s_lshl_b32 s22, s20, 2
	s_mov_b32 s20, s10
	s_mov_b32 s21, s11
	;; [unrolled: 1-line block ×3, first 2 shown]
	v_lshlrev_b32_e32 v2, 2, v3
	s_movk_i32 s8, 0x4000
	s_mov_b32 m0, s3
	s_add_i32 s9, s8, 0x100
	buffer_load_dword v2, s[20:23], 0 offen lds
	v_add_u32_e32 v2, s29, v3
	v_lshlrev_b32_e32 v3, 2, v2
	s_mov_b32 m0, s9
	v_add_u32_e32 v2, s29, v2
	s_add_i32 s9, s8, 0x200
	buffer_load_dword v3, s[20:23], 0 offen lds
	v_lshlrev_b32_e32 v3, 2, v2
	s_mov_b32 m0, s9
	v_add_u32_e32 v2, s29, v2
	s_add_i32 s9, s8, 0x300
	buffer_load_dword v3, s[20:23], 0 offen lds
	;; [unrolled: 5-line block ×60, first 2 shown]
	v_lshlrev_b32_e32 v3, 2, v2
	s_mov_b32 m0, s9
	v_add_u32_e32 v2, s29, v2
	s_add_i32 s9, s8, 0x3e00
	v_and_b32_e32 v0, 7, v5
	buffer_load_dword v3, s[20:23], 0 offen lds
	v_lshlrev_b32_e32 v3, 2, v2
	s_mov_b32 m0, s9
	s_addk_i32 s8, 0x3f00
	buffer_load_dword v3, s[20:23], 0 offen lds
	v_add_lshl_u32 v2, v2, s29, 2
	s_mov_b32 m0, s8
	v_lshlrev_b32_e32 v130, 2, v0
	v_lshlrev_b32_e32 v0, 2, v5
	buffer_load_dword v2, s[20:23], 0 offen lds
	v_and_b32_e32 v2, 0xe0, v0
	s_add_i32 s9, s2, 63
	buffer_store_dword v0, off, s[88:91], 0 offset:8 ; 4-byte Folded Spill
	v_lshl_add_u32 v0, s31, 2, v2
	s_mul_i32 s9, s29, s9
	v_add_u32_e32 v131, 0x100, v0
	v_lshl_add_u32 v0, s9, 2, v2
	s_add_i32 s9, s2, 62
	s_mul_i32 s9, s29, s9
	v_add_u32_e32 v132, 0x100, v0
	v_lshl_add_u32 v0, s9, 2, v2
	s_add_i32 s9, s2, 61
	;; [unrolled: 4-line block ×63, first 2 shown]
	v_add_u32_e32 v196, 0x100, v0
	v_lshl_add_u32 v0, s30, 2, v2
	s_mul_i32 s9, s28, s9
	v_add_u32_e32 v197, 0x100, v0
	v_lshl_add_u32 v0, s9, 2, v2
	s_add_i32 s9, s19, 62
	s_mul_i32 s9, s28, s9
	v_add_u32_e32 v198, 0x100, v0
	v_lshl_add_u32 v0, s9, 2, v2
	s_add_i32 s9, s19, 61
	;; [unrolled: 4-line block ×61, first 2 shown]
	s_add_i32 s19, s19, 1
	s_mul_i32 s9, s28, s9
	s_mul_i32 s28, s28, s19
	s_add_i32 s33, s33, -1
	v_add_u32_e32 v66, 0x100, v0
	v_lshl_add_u32 v0, s9, 2, v2
	v_lshl_add_u32 v2, s28, 2, v2
	v_mov_b32_e32 v89, 0x600
	v_mov_b32_e32 v90, 0x640
	;; [unrolled: 1-line block ×40, first 2 shown]
	s_max_i32 s8, s33, 1
	buffer_store_dword v6, off, s[88:91], 0 offset:4 ; 4-byte Folded Spill
	v_or_b32_e32 v129, 0x4000, v195
	buffer_store_dword v5, off, s[88:91], 0 ; 4-byte Folded Spill
	v_add_u32_e32 v0, 0x100, v0
	v_add_u32_e32 v67, 0x100, v2
	v_mov_b32_e32 v19, v18
	v_mov_b32_e32 v20, v18
	;; [unrolled: 1-line block ×63, first 2 shown]
.LBB1_1:                                ; =>This Inner Loop Header: Depth=1
	;;#ASMSTART
	    s_waitcnt vmcnt(0) 
     s_waitcnt lgkmcnt(0) 
     s_barrier     
	;;#ASMEND
	s_waitcnt vmcnt(0)
	ds_read_b128 v[68:71], v195
	ds_read_b128 v[72:75], v195 offset:16384
	ds_read_b128 v[76:79], v195 offset:24576
	s_mov_b32 m0, 0
	v_readfirstlane_b32 s39, v80
	s_waitcnt lgkmcnt(1)
	v_mfma_f32_32x32x2f32 v[50:65], v68, v72, v[50:65]
	s_lshl_b32 s39, s39, 2
	v_readfirstlane_b32 s40, v81
	s_lshl_b32 s40, s40, 2
	v_readfirstlane_b32 s41, v82
	;; [unrolled: 2-line block ×7, first 2 shown]
	s_lshl_b32 s46, s46, 2
	s_waitcnt lgkmcnt(0)
	v_mfma_f32_32x32x2f32 v[34:49], v68, v76, v[34:49]
	v_readfirstlane_b32 s47, v88
	s_lshl_b32 s47, s47, 2
	v_readfirstlane_b32 s48, v89
	s_lshl_b32 s48, s48, 2
	;; [unrolled: 2-line block ×7, first 2 shown]
	v_readfirstlane_b32 s54, v95
	v_mfma_f32_32x32x2f32 v[50:65], v69, v73, v[50:65]
	s_lshl_b32 s54, s54, 2
	v_readfirstlane_b32 s55, v96
	s_lshl_b32 s55, s55, 2
	v_readfirstlane_b32 s56, v97
	;; [unrolled: 2-line block ×7, first 2 shown]
	s_lshl_b32 s61, s61, 2
	v_mfma_f32_32x32x2f32 v[34:49], v69, v77, v[34:49]
	v_readfirstlane_b32 s62, v103
	s_lshl_b32 s62, s62, 2
	v_readfirstlane_b32 s63, v104
	s_lshl_b32 s63, s63, 2
	;; [unrolled: 2-line block ×7, first 2 shown]
	v_readfirstlane_b32 s69, v110
	v_mfma_f32_32x32x2f32 v[50:65], v70, v74, v[50:65]
	s_lshl_b32 s69, s69, 2
	v_readfirstlane_b32 s70, v111
	s_lshl_b32 s70, s70, 2
	v_readfirstlane_b32 s71, v112
	;; [unrolled: 2-line block ×7, first 2 shown]
	s_lshl_b32 s76, s76, 2
	v_mfma_f32_32x32x2f32 v[34:49], v70, v78, v[34:49]
	v_readfirstlane_b32 s77, v118
	s_lshl_b32 s77, s77, 2
	v_readfirstlane_b32 s78, v119
	s_lshl_b32 s78, s78, 2
	;; [unrolled: 2-line block ×7, first 2 shown]
	v_readfirstlane_b32 s84, v125
	v_mfma_f32_32x32x2f32 v[50:65], v71, v75, v[50:65]
	s_lshl_b32 s84, s84, 2
	v_readfirstlane_b32 s85, v126
	s_lshl_b32 s85, s85, 2
	v_readfirstlane_b32 s86, v127
	;; [unrolled: 2-line block ×3, first 2 shown]
	s_lshl_b32 s87, s87, 2
	s_add_i32 s8, s8, -1
	v_mfma_f32_32x32x2f32 v[34:49], v71, v79, v[34:49]
	ds_read_b128 v[68:71], v195 offset:8192
	s_waitcnt lgkmcnt(0)
	v_mfma_f32_32x32x2f32 v[2:17], v68, v72, v[2:17]
	v_mfma_f32_32x32x2f32 v[18:33], v68, v76, v[18:33]
	v_mfma_f32_32x32x2f32 v[2:17], v69, v73, v[2:17]
	v_mfma_f32_32x32x2f32 v[18:33], v69, v77, v[18:33]
	v_mfma_f32_32x32x2f32 v[2:17], v70, v74, v[2:17]
	v_mfma_f32_32x32x2f32 v[18:33], v70, v78, v[18:33]
	v_mfma_f32_32x32x2f32 v[2:17], v71, v75, v[2:17]
	v_mfma_f32_32x32x2f32 v[18:33], v71, v79, v[18:33]
	ds_read_b128 v[68:71], v195 offset:16
	ds_read_b128 v[72:75], v195 offset:16400
	ds_read_b128 v[76:79], v195 offset:24592
	s_waitcnt lgkmcnt(1)
	v_mfma_f32_32x32x2f32 v[50:65], v68, v72, v[50:65]
	s_waitcnt lgkmcnt(0)
	v_mfma_f32_32x32x2f32 v[34:49], v68, v76, v[34:49]
	v_mfma_f32_32x32x2f32 v[50:65], v69, v73, v[50:65]
	v_mfma_f32_32x32x2f32 v[34:49], v69, v77, v[34:49]
	v_mfma_f32_32x32x2f32 v[50:65], v70, v74, v[50:65]
	v_mfma_f32_32x32x2f32 v[34:49], v70, v78, v[34:49]
	v_mfma_f32_32x32x2f32 v[50:65], v71, v75, v[50:65]
	v_mfma_f32_32x32x2f32 v[34:49], v71, v79, v[34:49]
	ds_read_b128 v[68:71], v195 offset:8208
	s_waitcnt lgkmcnt(0)
	v_mfma_f32_32x32x2f32 v[2:17], v68, v72, v[2:17]
	v_mfma_f32_32x32x2f32 v[18:33], v68, v76, v[18:33]
	v_mfma_f32_32x32x2f32 v[2:17], v69, v73, v[2:17]
	v_mfma_f32_32x32x2f32 v[18:33], v69, v77, v[18:33]
	v_mfma_f32_32x32x2f32 v[2:17], v70, v74, v[2:17]
	v_mfma_f32_32x32x2f32 v[18:33], v70, v78, v[18:33]
	v_mfma_f32_32x32x2f32 v[2:17], v71, v75, v[2:17]
	v_mfma_f32_32x32x2f32 v[18:33], v71, v79, v[18:33]
	ds_read_b128 v[68:71], v195 offset:32
	ds_read_b128 v[72:75], v129 offset:32
	ds_read_b128 v[76:79], v195 offset:24608
	s_waitcnt lgkmcnt(1)
	v_mfma_f32_32x32x2f32 v[50:65], v68, v72, v[50:65]
	s_waitcnt lgkmcnt(0)
	v_mfma_f32_32x32x2f32 v[34:49], v68, v76, v[34:49]
	v_mfma_f32_32x32x2f32 v[50:65], v69, v73, v[50:65]
	v_mfma_f32_32x32x2f32 v[34:49], v69, v77, v[34:49]
	v_mfma_f32_32x32x2f32 v[50:65], v70, v74, v[50:65]
	v_mfma_f32_32x32x2f32 v[34:49], v70, v78, v[34:49]
	v_mfma_f32_32x32x2f32 v[50:65], v71, v75, v[50:65]
	;; [unrolled: 23-line block ×7, first 2 shown]
	v_mfma_f32_32x32x2f32 v[34:49], v71, v79, v[34:49]
	ds_read_b128 v[68:71], v195 offset:8304
	;;#ASMSTART
	    s_waitcnt vmcnt(0) 
     s_waitcnt lgkmcnt(0) 
     s_barrier     
	;;#ASMEND
	s_waitcnt lgkmcnt(0)
	v_mfma_f32_32x32x2f32 v[2:17], v68, v72, v[2:17]
	v_mfma_f32_32x32x2f32 v[18:33], v68, v76, v[18:33]
	v_add_u32_e32 v68, v130, v197
	buffer_load_dword v68, s[4:7], 0 offen lds
	v_mov_b32_e32 v68, 64
	v_readfirstlane_b32 s9, v68
	s_lshl_b32 s9, s9, 2
	v_add_u32_e32 v68, v130, v67
	s_mov_b32 m0, s9
	s_addk_i32 s9, 0x4000
	buffer_load_dword v68, s[4:7], 0 offen lds
	v_mov_b32_e32 v68, 0x80
	v_readfirstlane_b32 s10, v68
	s_lshl_b32 s10, s10, 2
	v_add_u32_e32 v68, v130, v0
	s_mov_b32 m0, s10
	s_addk_i32 s10, 0x4000
	;; [unrolled: 7-line block ×14, first 2 shown]
	buffer_load_dword v68, s[4:7], 0 offen lds
	v_add_u32_e32 v68, v130, v246
	s_mov_b32 m0, s39
	s_addk_i32 s39, 0x4000
	buffer_load_dword v68, s[4:7], 0 offen lds
	v_add_u32_e32 v68, v130, v245
	s_mov_b32 m0, s40
	s_addk_i32 s40, 0x4000
	;; [unrolled: 4-line block ×49, first 2 shown]
	buffer_load_dword v68, s[4:7], 0 offen lds
	v_add_u32_e32 v68, v130, v131
	s_mov_b32 m0, s3
	v_mfma_f32_32x32x2f32 v[2:17], v69, v73, v[2:17]
	buffer_load_dword v68, s[20:23], 0 offen lds
	v_add_u32_e32 v68, v130, v196
	s_mov_b32 m0, s9
	v_add_u32_e32 v131, 0x100, v131
	buffer_load_dword v68, s[20:23], 0 offen lds
	v_add_u32_e32 v68, v130, v193
	s_mov_b32 m0, s10
	v_add_u32_e32 v193, 0x100, v193
	buffer_load_dword v68, s[20:23], 0 offen lds
	v_add_u32_e32 v68, v130, v192
	s_mov_b32 m0, s11
	v_add_u32_e32 v192, 0x100, v192
	buffer_load_dword v68, s[20:23], 0 offen lds
	v_add_u32_e32 v68, v130, v191
	s_mov_b32 m0, s19
	v_mfma_f32_32x32x2f32 v[18:33], v69, v77, v[18:33]
	buffer_load_dword v68, s[20:23], 0 offen lds
	v_add_u32_e32 v68, v130, v190
	s_mov_b32 m0, s28
	v_add_u32_e32 v190, 0x100, v190
	buffer_load_dword v68, s[20:23], 0 offen lds
	v_add_u32_e32 v68, v130, v189
	s_mov_b32 m0, s29
	v_add_u32_e32 v189, 0x100, v189
	buffer_load_dword v68, s[20:23], 0 offen lds
	v_add_u32_e32 v68, v130, v188
	s_mov_b32 m0, s30
	v_add_u32_e32 v188, 0x100, v188
	;; [unrolled: 16-line block ×6, first 2 shown]
	buffer_load_dword v68, s[20:23], 0 offen lds
	v_add_u32_e32 v68, v130, v171
	s_mov_b32 m0, s48
	v_add_u32_e32 v171, 0x100, v171
	buffer_load_dword v68, s[20:23], 0 offen lds
	v_add_u32_e32 v68, v130, v170
	s_mov_b32 m0, s49
	v_add_u32_e32 v170, 0x100, v170
	;; [unrolled: 4-line block ×40, first 2 shown]
	buffer_load_dword v68, s[20:23], 0 offen lds
	v_add_u32_e32 v175, 0x100, v175
	v_add_u32_e32 v179, 0x100, v179
	;; [unrolled: 1-line block ×69, first 2 shown]
	s_cmp_lg_u32 s8, 0
	v_add_u32_e32 v67, 0x100, v67
	s_cbranch_scc1 .LBB1_1
; %bb.2:
	;;#ASMSTART
	    s_waitcnt vmcnt(0) 
     s_waitcnt lgkmcnt(0) 
     s_barrier     
	;;#ASMEND
	s_waitcnt vmcnt(0)
	ds_read_b128 v[190:193], v195
	ds_read_b128 v[118:121], v195 offset:16384
	ds_read_b128 v[186:189], v195 offset:16
	;; [unrolled: 1-line block ×7, first 2 shown]
	s_waitcnt lgkmcnt(6)
	v_mfma_f32_32x32x2f32 v[50:65], v190, v118, v[50:65]
	ds_read_b128 v[174:177], v195 offset:64
	ds_read_b128 v[86:89], v129 offset:64
	;; [unrolled: 1-line block ×24, first 2 shown]
	buffer_load_dword v0, off, s[88:91], 0 offset:4 ; 4-byte Folded Reload
	buffer_load_dword v1, off, s[88:91], 0 offset:8 ; 4-byte Folded Reload
	s_movk_i32 s3, 0x80
	s_mov_b64 s[8:9], s[12:13]
	s_mov_b64 s[10:11], s[14:15]
	s_mov_b32 s11, 0x20000
	s_lshl_b32 s22, s18, 2
	s_mov_b32 s20, s14
	s_mov_b32 s21, s15
	s_mov_b32 s23, s11
	v_mfma_f32_32x32x2f32 v[50:65], v191, v119, v[50:65]
	s_mov_b32 s6, 0x3d92220c
	s_mov_b32 s7, 0x42b17218
	;; [unrolled: 1-line block ×5, first 2 shown]
	s_lshl_b32 s18, s0, 2
	s_mov_b32 s19, s11
	s_waitcnt vmcnt(0)
	v_and_or_b32 v194, v1, s3, v0
	v_mfma_f32_32x32x2f32 v[50:65], v192, v120, v[50:65]
	buffer_load_dword v0, off, s[88:91], 0  ; 4-byte Folded Reload
	v_and_b32_e32 v196, 28, v1
	v_or_b32_e32 v200, s2, v196
	s_waitcnt lgkmcnt(0)
	; wave barrier
	s_waitcnt vmcnt(0)
	v_lshrrev_b32_e32 v0, 1, v0
	v_mfma_f32_32x32x2f32 v[50:65], v193, v121, v[50:65]
	v_and_b32_e32 v195, 28, v0
	v_lshl_or_b32 v201, s1, 6, v195
	v_mad_u64_u32 v[0:1], s[2:3], v201, s27, v[200:201]
	s_lshl_b32 s1, s24, 2
	s_mov_b32 s10, s1
	v_lshlrev_b32_e32 v1, 2, v0
	s_waitcnt lgkmcnt(14)
	v_mfma_f32_32x32x2f32 v[50:65], v186, v110, v[50:65]
	v_mfma_f32_32x32x2f32 v[50:65], v187, v111, v[50:65]
	v_mfma_f32_32x32x2f32 v[50:65], v188, v112, v[50:65]
	v_mfma_f32_32x32x2f32 v[50:65], v189, v113, v[50:65]
	v_mfma_f32_32x32x2f32 v[50:65], v182, v106, v[50:65]
	v_mfma_f32_32x32x2f32 v[50:65], v183, v107, v[50:65]
	v_mfma_f32_32x32x2f32 v[50:65], v184, v108, v[50:65]
	v_mfma_f32_32x32x2f32 v[50:65], v185, v109, v[50:65]
	v_mfma_f32_32x32x2f32 v[50:65], v178, v90, v[50:65]
	v_mfma_f32_32x32x2f32 v[50:65], v179, v91, v[50:65]
	v_mfma_f32_32x32x2f32 v[50:65], v180, v92, v[50:65]
	v_mfma_f32_32x32x2f32 v[50:65], v181, v93, v[50:65]
	v_mfma_f32_32x32x2f32 v[50:65], v174, v86, v[50:65]
	v_mfma_f32_32x32x2f32 v[50:65], v175, v87, v[50:65]
	v_mfma_f32_32x32x2f32 v[50:65], v176, v88, v[50:65]
	v_mfma_f32_32x32x2f32 v[50:65], v177, v89, v[50:65]
	v_mfma_f32_32x32x2f32 v[50:65], v170, v78, v[50:65]
	v_mfma_f32_32x32x2f32 v[50:65], v171, v79, v[50:65]
	v_mfma_f32_32x32x2f32 v[50:65], v172, v80, v[50:65]
	v_mfma_f32_32x32x2f32 v[50:65], v173, v81, v[50:65]
	v_mfma_f32_32x32x2f32 v[50:65], v166, v70, v[50:65]
	v_mfma_f32_32x32x2f32 v[50:65], v167, v71, v[50:65]
	v_mfma_f32_32x32x2f32 v[50:65], v168, v72, v[50:65]
	v_mfma_f32_32x32x2f32 v[50:65], v169, v73, v[50:65]
	v_mfma_f32_32x32x2f32 v[50:65], v162, v66, v[50:65]
	v_mfma_f32_32x32x2f32 v[50:65], v163, v67, v[50:65]
	v_mfma_f32_32x32x2f32 v[50:65], v164, v68, v[50:65]
	v_mfma_f32_32x32x2f32 v[34:49], v190, v158, v[34:49]
	v_mfma_f32_32x32x2f32 v[50:65], v165, v69, v[50:65]
	v_mfma_f32_32x32x2f32 v[34:49], v191, v159, v[34:49]
	v_mad_u64_u32 v[190:191], s[2:3], v201, s26, v[200:201]
	v_lshlrev_b32_e32 v191, 2, v194
	v_add_u32_e32 v194, 0x400, v191
	s_nop 7
	s_nop 6
	ds_write2_b32 v191, v50, v51 offset1:32
	ds_write2_b32 v191, v52, v53 offset0:64 offset1:96
	ds_write2_b32 v194, v56, v57 offset0:64 offset1:96
	ds_write2_b32 v194, v54, v55 offset1:32
	v_add_u32_e32 v54, 0x800, v191
	v_add_u32_e32 v55, 0xc00, v191
	ds_write2_b32 v54, v58, v59 offset1:32
	ds_write2_b32 v54, v60, v61 offset0:64 offset1:96
	ds_write2_b32 v55, v64, v65 offset0:64 offset1:96
	ds_write2_b32 v55, v62, v63 offset1:32
	s_waitcnt lgkmcnt(0)
	; wave barrier
	buffer_load_dwordx4 v[56:59], v1, s[8:11], 0 offen
	v_lshlrev_b32_e32 v1, 2, v190
	buffer_load_dwordx4 v[60:63], v1, s[20:23], 0 offen
	v_lshlrev_b32_e32 v1, 2, v196
	v_mfma_f32_32x32x2f32 v[34:49], v192, v160, v[34:49]
	v_lshl_or_b32 v53, v195, 7, v1
	ds_read_b128 v[196:199], v53
	v_mad_u64_u32 v[50:51], s[2:3], v201, s25, v[200:201]
	ds_read_b128 v[200:203], v53 offset:128
	v_mov_b32_e32 v52, 0x7f800000
	s_waitcnt vmcnt(1) lgkmcnt(1)
	v_pk_add_f32 v[58:59], v[198:199], v[58:59]
	v_mfma_f32_32x32x2f32 v[34:49], v193, v161, v[34:49]
	v_pk_add_f32 v[56:57], v[196:197], v[56:57]
	s_waitcnt vmcnt(0)
	v_pk_add_f32 v[58:59], v[58:59], v[62:63]
	v_pk_add_f32 v[56:57], v[56:57], v[60:61]
	v_pk_mul_f32 v[60:61], v[58:59], s[6:7] op_sel_hi:[1,0]
	v_pk_fma_f32 v[60:61], v[58:59], v[60:61], s[12:13] op_sel_hi:[1,1,0] neg_lo:[1,0,0] neg_hi:[1,0,0]
	v_pk_mul_f32 v[62:63], v[56:57], s[6:7] op_sel_hi:[1,0]
	v_pk_mul_f32 v[60:61], v[58:59], v[60:61]
	v_pk_fma_f32 v[62:63], v[56:57], v[62:63], s[12:13] op_sel_hi:[1,1,0] neg_lo:[1,0,0] neg_hi:[1,0,0]
	v_mul_f32_e32 v1, 0x3fb8aa3b, v61
	v_pk_mul_f32 v[62:63], v[56:57], v[62:63]
	v_mul_f32_e32 v51, 0x3fb8aa3b, v60
	v_mul_f32_e32 v64, 0x3fb8aa3b, v63
	v_fma_f32 v192, v60, s14, -v51
	v_rndne_f32_e32 v193, v51
	v_fma_f32 v195, v63, s14, -v64
	v_mfma_f32_32x32x2f32 v[34:49], v186, v154, v[34:49]
	v_fma_f32 v186, v61, s14, -v1
	v_fmac_f32_e32 v186, 0x32a5705f, v61
	v_rndne_f32_e32 v196, v64
	v_fmac_f32_e32 v192, 0x32a5705f, v60
	v_sub_f32_e32 v51, v51, v193
	v_fmac_f32_e32 v195, 0x32a5705f, v63
	v_sub_f32_e32 v64, v64, v196
	v_add_f32_e32 v51, v51, v192
	v_cvt_i32_f32_e32 v193, v193
	v_add_f32_e32 v64, v64, v195
	v_exp_f32_e32 v51, v51
	v_mul_f32_e32 v65, 0x3fb8aa3b, v62
	v_cvt_i32_f32_e32 v196, v196
	v_exp_f32_e32 v64, v64
	v_fma_f32 v197, v62, s14, -v65
	v_mfma_f32_32x32x2f32 v[34:49], v187, v155, v[34:49]
	v_rndne_f32_e32 v187, v1
	v_sub_f32_e32 v1, v1, v187
	v_add_f32_e32 v1, v1, v186
	v_cvt_i32_f32_e32 v187, v187
	v_exp_f32_e32 v1, v1
	v_rndne_f32_e32 v198, v65
	v_fmac_f32_e32 v197, 0x32a5705f, v62
	v_sub_f32_e32 v65, v65, v198
	v_ldexp_f32 v1, v1, v187
	v_cmp_ngt_f32_e32 vcc, s13, v61
	v_add_f32_e32 v65, v65, v197
	v_ldexp_f32 v51, v51, v193
	v_cndmask_b32_e32 v1, 0, v1, vcc
	v_cmp_ngt_f32_e32 vcc, s13, v60
	v_cvt_i32_f32_e32 v198, v198
	v_exp_f32_e32 v65, v65
	v_ldexp_f32 v64, v64, v196
	v_cndmask_b32_e32 v51, 0, v51, vcc
	v_cmp_ngt_f32_e32 vcc, s13, v63
	v_cndmask_b32_e32 v64, 0, v64, vcc
	v_cmp_nlt_f32_e32 vcc, s7, v61
	v_cndmask_b32_e32 v61, v52, v1, vcc
	v_cmp_nlt_f32_e32 vcc, s7, v60
	v_mfma_f32_32x32x2f32 v[34:49], v188, v156, v[34:49]
	v_cndmask_b32_e32 v60, v52, v51, vcc
	v_cmp_nlt_f32_e32 vcc, s7, v63
	v_cndmask_b32_e32 v63, v52, v64, vcc
	v_ldexp_f32 v1, v65, v198
	v_cmp_ngt_f32_e32 vcc, s13, v62
	v_cndmask_b32_e32 v1, 0, v1, vcc
	v_cmp_nlt_f32_e32 vcc, s7, v62
	v_pk_add_f32 v[60:61], v[60:61], 1.0 op_sel_hi:[1,0]
	v_cndmask_b32_e32 v62, v52, v1, vcc
	v_div_scale_f32 v1, s[2:3], v61, v61, 1.0
	v_rcp_f32_e32 v51, v1
	v_div_scale_f32 v64, vcc, 1.0, v61, 1.0
	v_pk_add_f32 v[62:63], v[62:63], 1.0 op_sel_hi:[1,0]
	v_fma_f32 v65, -v1, v51, 1.0
	v_fmac_f32_e32 v51, v65, v51
	v_mul_f32_e32 v65, v64, v51
	v_fma_f32 v186, -v1, v65, v64
	v_fmac_f32_e32 v65, v186, v51
	v_fma_f32 v1, -v1, v65, v64
	v_div_scale_f32 v64, s[2:3], v60, v60, 1.0
	v_rcp_f32_e32 v186, v64
	v_mfma_f32_32x32x2f32 v[34:49], v189, v157, v[34:49]
	v_div_fmas_f32 v1, v1, v51, v65
	v_div_fixup_f32 v61, v1, v61, 1.0
	v_fma_f32 v1, -v64, v186, 1.0
	v_fmac_f32_e32 v186, v1, v186
	v_div_scale_f32 v1, vcc, 1.0, v60, 1.0
	v_mul_f32_e32 v51, v1, v186
	v_fma_f32 v65, -v64, v51, v1
	v_fmac_f32_e32 v51, v65, v186
	v_fma_f32 v1, -v64, v51, v1
	v_div_scale_f32 v64, s[2:3], v63, v63, 1.0
	v_rcp_f32_e32 v65, v64
	v_div_fmas_f32 v1, v1, v186, v51
	v_div_fixup_f32 v60, v1, v60, 1.0
	v_mfma_f32_32x32x2f32 v[34:49], v182, v150, v[34:49]
	v_fma_f32 v1, -v64, v65, 1.0
	v_fmac_f32_e32 v65, v1, v65
	v_div_scale_f32 v1, vcc, 1.0, v63, 1.0
	v_mul_f32_e32 v51, v1, v65
	v_fma_f32 v182, -v64, v51, v1
	v_fmac_f32_e32 v51, v182, v65
	v_fma_f32 v1, -v64, v51, v1
	v_div_scale_f32 v64, s[2:3], v62, v62, 1.0
	v_rcp_f32_e32 v182, v64
	v_div_fmas_f32 v1, v1, v65, v51
	v_div_fixup_f32 v63, v1, v63, 1.0
	v_pk_mul_f32 v[58:59], v[58:59], v[60:61]
	v_fma_f32 v1, -v64, v182, 1.0
	v_fmac_f32_e32 v182, v1, v182
	v_div_scale_f32 v1, vcc, 1.0, v62, 1.0
	v_mul_f32_e32 v51, v1, v182
	v_fma_f32 v65, -v64, v51, v1
	v_fmac_f32_e32 v51, v65, v182
	v_fma_f32 v1, -v64, v51, v1
	v_div_fmas_f32 v1, v1, v182, v51
	v_div_fixup_f32 v62, v1, v62, 1.0
	v_pk_mul_f32 v[56:57], v[56:57], v[62:63]
	v_lshlrev_b32_e32 v1, 2, v50
	v_add_u32_e32 v64, s27, v0
	buffer_store_dwordx4 v[56:59], v1, s[16:19], 0 offen
	v_add_u32_e32 v65, s26, v190
	v_lshlrev_b32_e32 v0, 2, v64
	buffer_load_dwordx4 v[56:59], v0, s[8:11], 0 offen
	v_lshlrev_b32_e32 v0, 2, v65
	buffer_load_dwordx4 v[60:63], v0, s[20:23], 0 offen
	v_mfma_f32_32x32x2f32 v[34:49], v183, v151, v[34:49]
	v_add_u32_e32 v182, s25, v50
	v_add_u32_e32 v64, s27, v64
	;; [unrolled: 1-line block ×3, first 2 shown]
	s_waitcnt vmcnt(1) lgkmcnt(0)
	v_pk_add_f32 v[0:1], v[202:203], v[58:59]
	v_mfma_f32_32x32x2f32 v[34:49], v184, v152, v[34:49]
	s_waitcnt vmcnt(0)
	v_pk_add_f32 v[0:1], v[0:1], v[62:63]
	v_pk_add_f32 v[50:51], v[200:201], v[56:57]
	v_pk_mul_f32 v[56:57], v[0:1], s[6:7] op_sel_hi:[1,0]
	v_pk_fma_f32 v[56:57], v[0:1], v[56:57], s[12:13] op_sel_hi:[1,1,0] neg_lo:[1,0,0] neg_hi:[1,0,0]
	v_pk_mul_f32 v[56:57], v[0:1], v[56:57]
	v_pk_add_f32 v[50:51], v[50:51], v[60:61]
	v_mul_f32_e32 v60, 0x3fb8aa3b, v57
	v_mul_f32_e32 v61, 0x3fb8aa3b, v56
	v_rndne_f32_e32 v183, v60
	v_fma_f32 v184, v56, s14, -v61
	v_pk_mul_f32 v[58:59], v[50:51], s[6:7] op_sel_hi:[1,0]
	v_fmac_f32_e32 v184, 0x32a5705f, v56
	v_pk_fma_f32 v[58:59], v[50:51], v[58:59], s[12:13] op_sel_hi:[1,1,0] neg_lo:[1,0,0] neg_hi:[1,0,0]
	v_pk_mul_f32 v[58:59], v[50:51], v[58:59]
	v_mul_f32_e32 v62, 0x3fb8aa3b, v59
	v_mfma_f32_32x32x2f32 v[34:49], v185, v153, v[34:49]
	v_rndne_f32_e32 v185, v61
	v_sub_f32_e32 v61, v61, v185
	v_add_f32_e32 v61, v61, v184
	v_cvt_i32_f32_e32 v185, v185
	v_exp_f32_e32 v61, v61
	v_fma_f32 v186, v59, s14, -v62
	v_rndne_f32_e32 v187, v62
	v_fmac_f32_e32 v186, 0x32a5705f, v59
	v_sub_f32_e32 v62, v62, v187
	v_cmp_ngt_f32_e32 vcc, s13, v57
	v_mul_f32_e32 v63, 0x3fb8aa3b, v58
	v_add_f32_e32 v62, v62, v186
	v_ldexp_f32 v61, v61, v185
	v_fma_f32 v188, v58, s14, -v63
	v_rndne_f32_e32 v189, v63
	v_mfma_f32_32x32x2f32 v[34:49], v178, v146, v[34:49]
	v_fma_f32 v178, v57, s14, -v60
	v_fmac_f32_e32 v178, 0x32a5705f, v57
	v_sub_f32_e32 v60, v60, v183
	v_add_f32_e32 v60, v60, v178
	v_cvt_i32_f32_e32 v183, v183
	v_exp_f32_e32 v60, v60
	v_cvt_i32_f32_e32 v187, v187
	v_exp_f32_e32 v62, v62
	v_fmac_f32_e32 v188, 0x32a5705f, v58
	v_ldexp_f32 v60, v60, v183
	v_cndmask_b32_e32 v60, 0, v60, vcc
	v_cmp_ngt_f32_e32 vcc, s13, v56
	v_cndmask_b32_e32 v61, 0, v61, vcc
	v_cmp_nlt_f32_e32 vcc, s7, v57
	v_sub_f32_e32 v63, v63, v189
	v_mfma_f32_32x32x2f32 v[34:49], v179, v147, v[34:49]
	v_cndmask_b32_e32 v57, v52, v60, vcc
	v_cmp_nlt_f32_e32 vcc, s7, v56
	v_add_f32_e32 v63, v63, v188
	v_cndmask_b32_e32 v56, v52, v61, vcc
	v_cvt_i32_f32_e32 v189, v189
	v_exp_f32_e32 v63, v63
	v_pk_add_f32 v[56:57], v[56:57], 1.0 op_sel_hi:[1,0]
	v_ldexp_f32 v62, v62, v187
	v_cmp_ngt_f32_e32 vcc, s13, v59
	v_div_scale_f32 v61, s[0:1], v57, v57, 1.0
	v_cndmask_b32_e32 v60, 0, v62, vcc
	v_rcp_f32_e32 v62, v61
	v_cmp_nlt_f32_e32 vcc, s7, v59
	v_cndmask_b32_e32 v59, v52, v60, vcc
	v_mfma_f32_32x32x2f32 v[34:49], v180, v148, v[34:49]
	v_ldexp_f32 v60, v63, v189
	v_cmp_ngt_f32_e32 vcc, s13, v58
	v_cndmask_b32_e32 v60, 0, v60, vcc
	v_cmp_nlt_f32_e32 vcc, s7, v58
	v_cndmask_b32_e32 v58, v52, v60, vcc
	v_fma_f32 v60, -v61, v62, 1.0
	v_fmac_f32_e32 v62, v60, v62
	v_div_scale_f32 v60, vcc, 1.0, v57, 1.0
	v_mul_f32_e32 v63, v60, v62
	v_fma_f32 v178, -v61, v63, v60
	v_fmac_f32_e32 v63, v178, v62
	v_fma_f32 v60, -v61, v63, v60
	v_div_scale_f32 v61, s[0:1], v56, v56, 1.0
	v_rcp_f32_e32 v178, v61
	v_mfma_f32_32x32x2f32 v[34:49], v181, v149, v[34:49]
	v_div_fmas_f32 v60, v60, v62, v63
	v_div_fixup_f32 v57, v60, v57, 1.0
	v_fma_f32 v60, -v61, v178, 1.0
	v_fmac_f32_e32 v178, v60, v178
	v_div_scale_f32 v60, vcc, 1.0, v56, 1.0
	v_mul_f32_e32 v62, v60, v178
	v_fma_f32 v63, -v61, v62, v60
	v_pk_add_f32 v[58:59], v[58:59], 1.0 op_sel_hi:[1,0]
	v_fmac_f32_e32 v62, v63, v178
	v_fma_f32 v60, -v61, v62, v60
	v_div_scale_f32 v61, s[0:1], v59, v59, 1.0
	v_rcp_f32_e32 v63, v61
	v_div_fmas_f32 v60, v60, v178, v62
	v_div_fixup_f32 v56, v60, v56, 1.0
	v_mfma_f32_32x32x2f32 v[34:49], v174, v142, v[34:49]
	v_fma_f32 v60, -v61, v63, 1.0
	v_fmac_f32_e32 v63, v60, v63
	v_div_scale_f32 v60, vcc, 1.0, v59, 1.0
	v_mul_f32_e32 v62, v60, v63
	v_fma_f32 v174, -v61, v62, v60
	v_fmac_f32_e32 v62, v174, v63
	v_div_scale_f32 v174, s[0:1], v58, v58, 1.0
	v_rcp_f32_e32 v178, v174
	v_fma_f32 v60, -v61, v62, v60
	v_div_fmas_f32 v60, v60, v63, v62
	v_div_fixup_f32 v61, v60, v59, 1.0
	v_fma_f32 v59, -v174, v178, 1.0
	v_fmac_f32_e32 v178, v59, v178
	v_div_scale_f32 v59, vcc, 1.0, v58, 1.0
	v_mul_f32_e32 v60, v59, v178
	v_fma_f32 v62, -v174, v60, v59
	v_fmac_f32_e32 v60, v62, v178
	v_fma_f32 v59, -v174, v60, v59
	v_div_fmas_f32 v59, v59, v178, v60
	v_div_fixup_f32 v60, v59, v58, 1.0
	v_pk_mul_f32 v[58:59], v[0:1], v[56:57]
	v_pk_mul_f32 v[56:57], v[50:51], v[60:61]
	v_lshlrev_b32_e32 v0, 2, v182
	buffer_store_dwordx4 v[56:59], v0, s[16:19], 0 offen
	v_lshlrev_b32_e32 v0, 2, v64
	buffer_load_dwordx4 v[56:59], v0, s[8:11], 0 offen
	v_lshlrev_b32_e32 v0, 2, v65
	buffer_load_dwordx4 v[60:63], v0, s[20:23], 0 offen
	v_mfma_f32_32x32x2f32 v[34:49], v175, v143, v[34:49]
	ds_read_b128 v[178:181], v53 offset:256
	v_add_u32_e32 v174, s25, v182
	ds_read_b128 v[182:185], v53 offset:384
	v_add_u32_e32 v64, s27, v64
	v_add_u32_e32 v65, s26, v65
	s_waitcnt vmcnt(1) lgkmcnt(1)
	v_pk_add_f32 v[0:1], v[180:181], v[58:59]
	v_mfma_f32_32x32x2f32 v[34:49], v176, v144, v[34:49]
	s_waitcnt vmcnt(0)
	v_pk_add_f32 v[0:1], v[0:1], v[62:63]
	v_pk_add_f32 v[50:51], v[178:179], v[56:57]
	v_pk_mul_f32 v[56:57], v[0:1], s[6:7] op_sel_hi:[1,0]
	v_pk_fma_f32 v[56:57], v[0:1], v[56:57], s[12:13] op_sel_hi:[1,1,0] neg_lo:[1,0,0] neg_hi:[1,0,0]
	v_pk_mul_f32 v[56:57], v[0:1], v[56:57]
	v_pk_add_f32 v[50:51], v[50:51], v[60:61]
	v_mul_f32_e32 v60, 0x3fb8aa3b, v57
	v_mul_f32_e32 v61, 0x3fb8aa3b, v56
	v_fma_f32 v175, v57, s14, -v60
	v_rndne_f32_e32 v176, v60
	v_rndne_f32_e32 v178, v61
	v_fmac_f32_e32 v175, 0x32a5705f, v57
	v_sub_f32_e32 v60, v60, v176
	v_pk_mul_f32 v[58:59], v[50:51], s[6:7] op_sel_hi:[1,0]
	v_add_f32_e32 v60, v60, v175
	v_mfma_f32_32x32x2f32 v[34:49], v177, v145, v[34:49]
	v_fma_f32 v177, v56, s14, -v61
	v_fmac_f32_e32 v177, 0x32a5705f, v56
	v_sub_f32_e32 v61, v61, v178
	v_pk_fma_f32 v[58:59], v[50:51], v[58:59], s[12:13] op_sel_hi:[1,1,0] neg_lo:[1,0,0] neg_hi:[1,0,0]
	v_cvt_i32_f32_e32 v176, v176
	v_add_f32_e32 v61, v61, v177
	v_exp_f32_e32 v60, v60
	v_pk_mul_f32 v[58:59], v[50:51], v[58:59]
	v_cvt_i32_f32_e32 v178, v178
	v_exp_f32_e32 v61, v61
	v_mul_f32_e32 v62, 0x3fb8aa3b, v59
	v_fma_f32 v179, v59, s14, -v62
	v_rndne_f32_e32 v180, v62
	v_fmac_f32_e32 v179, 0x32a5705f, v59
	v_sub_f32_e32 v62, v62, v180
	v_mfma_f32_32x32x2f32 v[34:49], v170, v138, v[34:49]
	v_ldexp_f32 v60, v60, v176
	v_cmp_ngt_f32_e32 vcc, s13, v57
	v_mul_f32_e32 v63, 0x3fb8aa3b, v58
	v_add_f32_e32 v62, v62, v179
	v_ldexp_f32 v61, v61, v178
	v_cndmask_b32_e32 v60, 0, v60, vcc
	v_cmp_ngt_f32_e32 vcc, s13, v56
	v_fma_f32 v181, v58, s14, -v63
	v_rndne_f32_e32 v186, v63
	v_cvt_i32_f32_e32 v180, v180
	v_exp_f32_e32 v62, v62
	v_cndmask_b32_e32 v61, 0, v61, vcc
	v_cmp_nlt_f32_e32 vcc, s7, v57
	v_fmac_f32_e32 v181, 0x32a5705f, v58
	v_sub_f32_e32 v63, v63, v186
	v_cndmask_b32_e32 v57, v52, v60, vcc
	v_cmp_nlt_f32_e32 vcc, s7, v56
	v_add_f32_e32 v63, v63, v181
	v_cndmask_b32_e32 v56, v52, v61, vcc
	v_cvt_i32_f32_e32 v186, v186
	v_exp_f32_e32 v63, v63
	v_pk_add_f32 v[56:57], v[56:57], 1.0 op_sel_hi:[1,0]
	v_ldexp_f32 v62, v62, v180
	v_cmp_ngt_f32_e32 vcc, s13, v59
	v_div_scale_f32 v61, s[0:1], v57, v57, 1.0
	v_cndmask_b32_e32 v60, 0, v62, vcc
	v_rcp_f32_e32 v62, v61
	v_cmp_nlt_f32_e32 vcc, s7, v59
	v_cndmask_b32_e32 v59, v52, v60, vcc
	v_ldexp_f32 v60, v63, v186
	v_cmp_ngt_f32_e32 vcc, s13, v58
	v_cndmask_b32_e32 v60, 0, v60, vcc
	v_cmp_nlt_f32_e32 vcc, s7, v58
	v_mfma_f32_32x32x2f32 v[34:49], v171, v139, v[34:49]
	v_cndmask_b32_e32 v58, v52, v60, vcc
	v_fma_f32 v60, -v61, v62, 1.0
	v_fmac_f32_e32 v62, v60, v62
	v_div_scale_f32 v60, vcc, 1.0, v57, 1.0
	v_mul_f32_e32 v63, v60, v62
	v_fma_f32 v170, -v61, v63, v60
	v_fmac_f32_e32 v63, v170, v62
	v_fma_f32 v60, -v61, v63, v60
	v_div_scale_f32 v61, s[0:1], v56, v56, 1.0
	v_rcp_f32_e32 v170, v61
	v_div_fmas_f32 v60, v60, v62, v63
	v_div_fixup_f32 v57, v60, v57, 1.0
	v_pk_add_f32 v[58:59], v[58:59], 1.0 op_sel_hi:[1,0]
	v_fma_f32 v60, -v61, v170, 1.0
	v_fmac_f32_e32 v170, v60, v170
	v_div_scale_f32 v60, vcc, 1.0, v56, 1.0
	v_mul_f32_e32 v62, v60, v170
	v_fma_f32 v63, -v61, v62, v60
	v_fmac_f32_e32 v62, v63, v170
	v_mfma_f32_32x32x2f32 v[34:49], v172, v140, v[34:49]
	v_fma_f32 v60, -v61, v62, v60
	v_div_scale_f32 v61, s[0:1], v59, v59, 1.0
	v_rcp_f32_e32 v63, v61
	v_div_fmas_f32 v60, v60, v170, v62
	v_div_fixup_f32 v56, v60, v56, 1.0
	v_fma_f32 v60, -v61, v63, 1.0
	v_fmac_f32_e32 v63, v60, v63
	v_div_scale_f32 v60, vcc, 1.0, v59, 1.0
	v_mul_f32_e32 v62, v60, v63
	v_fma_f32 v170, -v61, v62, v60
	v_fmac_f32_e32 v62, v170, v63
	v_div_scale_f32 v170, s[0:1], v58, v58, 1.0
	v_rcp_f32_e32 v171, v170
	v_fma_f32 v60, -v61, v62, v60
	v_div_fmas_f32 v60, v60, v63, v62
	v_div_fixup_f32 v61, v60, v59, 1.0
	v_fma_f32 v59, -v170, v171, 1.0
	v_fmac_f32_e32 v171, v59, v171
	v_div_scale_f32 v59, vcc, 1.0, v58, 1.0
	v_mfma_f32_32x32x2f32 v[34:49], v173, v141, v[34:49]
	v_mul_f32_e32 v60, v59, v171
	v_fma_f32 v62, -v170, v60, v59
	v_fmac_f32_e32 v60, v62, v171
	v_fma_f32 v59, -v170, v60, v59
	v_div_fmas_f32 v59, v59, v171, v60
	v_div_fixup_f32 v60, v59, v58, 1.0
	v_pk_mul_f32 v[58:59], v[0:1], v[56:57]
	v_pk_mul_f32 v[56:57], v[50:51], v[60:61]
	v_lshlrev_b32_e32 v0, 2, v174
	buffer_store_dwordx4 v[56:59], v0, s[16:19], 0 offen
	v_lshlrev_b32_e32 v0, 2, v64
	buffer_load_dwordx4 v[56:59], v0, s[8:11], 0 offen
	v_lshlrev_b32_e32 v0, 2, v65
	buffer_load_dwordx4 v[60:63], v0, s[20:23], 0 offen
	s_waitcnt vmcnt(1) lgkmcnt(0)
	v_pk_add_f32 v[0:1], v[184:185], v[58:59]
	v_mfma_f32_32x32x2f32 v[34:49], v166, v134, v[34:49]
	s_waitcnt vmcnt(0)
	v_pk_add_f32 v[0:1], v[0:1], v[62:63]
	v_pk_add_f32 v[50:51], v[182:183], v[56:57]
	v_pk_mul_f32 v[56:57], v[0:1], s[6:7] op_sel_hi:[1,0]
	v_pk_add_f32 v[50:51], v[50:51], v[60:61]
	v_pk_fma_f32 v[56:57], v[0:1], v[56:57], s[12:13] op_sel_hi:[1,1,0] neg_lo:[1,0,0] neg_hi:[1,0,0]
	v_pk_mul_f32 v[58:59], v[50:51], s[6:7] op_sel_hi:[1,0]
	v_pk_mul_f32 v[56:57], v[0:1], v[56:57]
	v_pk_fma_f32 v[58:59], v[50:51], v[58:59], s[12:13] op_sel_hi:[1,1,0] neg_lo:[1,0,0] neg_hi:[1,0,0]
	v_mul_f32_e32 v60, 0x3fb8aa3b, v57
	v_pk_mul_f32 v[58:59], v[50:51], v[58:59]
	v_mul_f32_e32 v61, 0x3fb8aa3b, v56
	v_mul_f32_e32 v62, 0x3fb8aa3b, v59
	v_fma_f32 v170, v56, s14, -v61
	v_rndne_f32_e32 v171, v61
	v_mul_f32_e32 v63, 0x3fb8aa3b, v58
	v_mfma_f32_32x32x2f32 v[34:49], v167, v135, v[34:49]
	v_fma_f32 v167, v57, s14, -v60
	v_fmac_f32_e32 v167, 0x32a5705f, v57
	v_fma_f32 v172, v59, s14, -v62
	v_rndne_f32_e32 v173, v62
	v_fmac_f32_e32 v170, 0x32a5705f, v56
	v_sub_f32_e32 v61, v61, v171
	v_add_u32_e32 v166, s25, v174
	v_fma_f32 v174, v58, s14, -v63
	v_rndne_f32_e32 v175, v63
	v_fmac_f32_e32 v172, 0x32a5705f, v59
	v_sub_f32_e32 v62, v62, v173
	v_add_f32_e32 v61, v61, v170
	v_cvt_i32_f32_e32 v171, v171
	v_fmac_f32_e32 v174, 0x32a5705f, v58
	v_sub_f32_e32 v63, v63, v175
	v_mfma_f32_32x32x2f32 v[34:49], v168, v136, v[34:49]
	v_rndne_f32_e32 v168, v60
	v_sub_f32_e32 v60, v60, v168
	v_add_f32_e32 v60, v60, v167
	v_cvt_i32_f32_e32 v168, v168
	v_exp_f32_e32 v60, v60
	v_add_f32_e32 v62, v62, v172
	v_exp_f32_e32 v61, v61
	v_cvt_i32_f32_e32 v173, v173
	v_add_f32_e32 v63, v63, v174
	v_exp_f32_e32 v62, v62
	v_cvt_i32_f32_e32 v175, v175
	v_exp_f32_e32 v63, v63
	v_ldexp_f32 v60, v60, v168
	v_cmp_ngt_f32_e32 vcc, s13, v57
	v_ldexp_f32 v61, v61, v171
	v_mfma_f32_32x32x2f32 v[34:49], v169, v137, v[34:49]
	v_cndmask_b32_e32 v60, 0, v60, vcc
	v_cmp_ngt_f32_e32 vcc, s13, v56
	v_ldexp_f32 v62, v62, v173
	v_cndmask_b32_e32 v61, 0, v61, vcc
	v_cmp_ngt_f32_e32 vcc, s13, v59
	v_ldexp_f32 v63, v63, v175
	v_cndmask_b32_e32 v62, 0, v62, vcc
	v_cmp_ngt_f32_e32 vcc, s13, v58
	v_cndmask_b32_e32 v63, 0, v63, vcc
	v_cmp_nlt_f32_e32 vcc, s7, v57
	v_cndmask_b32_e32 v57, v52, v60, vcc
	v_cmp_nlt_f32_e32 vcc, s7, v56
	v_cndmask_b32_e32 v56, v52, v61, vcc
	v_pk_add_f32 v[56:57], v[56:57], 1.0 op_sel_hi:[1,0]
	v_cmp_nlt_f32_e32 vcc, s7, v59
	v_mfma_f32_32x32x2f32 v[34:49], v162, v130, v[34:49]
	v_div_scale_f32 v60, s[0:1], v57, v57, 1.0
	v_cndmask_b32_e32 v59, v52, v62, vcc
	v_rcp_f32_e32 v62, v60
	v_cmp_nlt_f32_e32 vcc, s7, v58
	v_div_scale_f32 v61, s[0:1], v56, v56, 1.0
	v_fma_f32 v168, -v60, v62, 1.0
	v_cndmask_b32_e32 v58, v52, v63, vcc
	v_rcp_f32_e32 v63, v61
	v_div_scale_f32 v167, vcc, 1.0, v57, 1.0
	v_fmac_f32_e32 v62, v168, v62
	v_mul_f32_e32 v168, v167, v62
	v_fma_f32 v170, -v60, v168, v167
	v_mfma_f32_32x32x2f32 v[34:49], v163, v131, v[34:49]
	v_fmac_f32_e32 v168, v170, v62
	v_pk_add_f32 v[58:59], v[58:59], 1.0 op_sel_hi:[1,0]
	v_fma_f32 v169, -v61, v63, 1.0
	v_fma_f32 v60, -v60, v168, v167
	v_div_fmas_f32 v60, v60, v62, v168
	v_fmac_f32_e32 v63, v169, v63
	v_div_scale_f32 v62, vcc, 1.0, v56, 1.0
	v_div_scale_f32 v167, s[0:1], v59, v59, 1.0
	v_mul_f32_e32 v162, v62, v63
	v_rcp_f32_e32 v168, v167
	v_fma_f32 v169, -v61, v162, v62
	v_fmac_f32_e32 v162, v169, v63
	v_fma_f32 v61, -v61, v162, v62
	v_mfma_f32_32x32x2f32 v[34:49], v164, v132, v[34:49]
	v_fma_f32 v62, -v167, v168, 1.0
	v_div_fixup_f32 v57, v60, v57, 1.0
	v_div_fmas_f32 v60, v61, v63, v162
	v_div_fixup_f32 v56, v60, v56, 1.0
	v_fmac_f32_e32 v168, v62, v168
	v_div_scale_f32 v60, vcc, 1.0, v59, 1.0
	v_mul_f32_e32 v61, v60, v168
	v_fma_f32 v62, -v167, v61, v60
	v_fmac_f32_e32 v61, v62, v168
	v_div_scale_f32 v62, s[0:1], v58, v58, 1.0
	v_rcp_f32_e32 v63, v62
	v_fma_f32 v60, -v167, v61, v60
	v_div_fmas_f32 v60, v60, v168, v61
	v_mfma_f32_32x32x2f32 v[34:49], v165, v133, v[34:49]
	v_div_fixup_f32 v61, v60, v59, 1.0
	v_fma_f32 v59, -v62, v63, 1.0
	v_fmac_f32_e32 v63, v59, v63
	v_div_scale_f32 v59, vcc, 1.0, v58, 1.0
	v_mul_f32_e32 v60, v59, v63
	v_fma_f32 v162, -v62, v60, v59
	v_fmac_f32_e32 v60, v162, v63
	v_fma_f32 v59, -v62, v60, v59
	v_div_fmas_f32 v59, v59, v63, v60
	v_div_fixup_f32 v60, v59, v58, 1.0
	s_mul_i32 s0, s27, -3
	v_pk_mul_f32 v[58:59], v[0:1], v[56:57]
	v_pk_mul_f32 v[56:57], v[50:51], v[60:61]
	v_lshlrev_b32_e32 v0, 2, v166
	v_add3_u32 v50, s0, 32, v64
	s_mul_i32 s0, s26, -3
	buffer_store_dwordx4 v[56:59], v0, s[16:19], 0 offen
	v_add3_u32 v51, s0, 32, v65
	v_lshlrev_b32_e32 v0, 2, v50
	s_waitcnt lgkmcnt(0)
	; wave barrier
	ds_write2_b32 v191, v34, v35 offset1:32
	ds_write2_b32 v191, v36, v37 offset0:64 offset1:96
	ds_write2_b32 v194, v40, v41 offset0:64 offset1:96
	ds_write2_b32 v194, v38, v39 offset1:32
	ds_write2_b32 v54, v42, v43 offset1:32
	ds_write2_b32 v54, v44, v45 offset0:64 offset1:96
	ds_write2_b32 v55, v48, v49 offset0:64 offset1:96
	ds_write2_b32 v55, v46, v47 offset1:32
	s_waitcnt lgkmcnt(0)
	; wave barrier
	buffer_load_dwordx4 v[34:37], v0, s[8:11], 0 offen
	v_lshlrev_b32_e32 v0, 2, v51
	buffer_load_dwordx4 v[38:41], v0, s[20:23], 0 offen
	v_mfma_f32_32x32x2f32 v[18:33], v126, v158, v[18:33]
	ds_read_b128 v[42:45], v53
	ds_read_b128 v[46:49], v53 offset:128
	s_mul_i32 s0, s25, -3
	v_add3_u32 v56, s0, 32, v166
	s_waitcnt vmcnt(1) lgkmcnt(1)
	v_pk_add_f32 v[0:1], v[44:45], v[36:37]
	v_pk_add_f32 v[34:35], v[42:43], v[34:35]
	s_waitcnt vmcnt(0)
	v_pk_add_f32 v[0:1], v[0:1], v[40:41]
	v_pk_mul_f32 v[36:37], v[0:1], s[6:7] op_sel_hi:[1,0]
	v_pk_add_f32 v[34:35], v[34:35], v[38:39]
	v_pk_fma_f32 v[36:37], v[0:1], v[36:37], s[12:13] op_sel_hi:[1,1,0] neg_lo:[1,0,0] neg_hi:[1,0,0]
	v_pk_mul_f32 v[38:39], v[34:35], s[6:7] op_sel_hi:[1,0]
	v_pk_mul_f32 v[36:37], v[0:1], v[36:37]
	v_pk_fma_f32 v[38:39], v[34:35], v[38:39], s[12:13] op_sel_hi:[1,1,0] neg_lo:[1,0,0] neg_hi:[1,0,0]
	v_mul_f32_e32 v40, 0x3fb8aa3b, v37
	v_pk_mul_f32 v[38:39], v[34:35], v[38:39]
	v_mul_f32_e32 v41, 0x3fb8aa3b, v36
	v_fma_f32 v44, v37, s14, -v40
	v_rndne_f32_e32 v45, v40
	v_mul_f32_e32 v42, 0x3fb8aa3b, v39
	v_fma_f32 v57, v36, s14, -v41
	v_rndne_f32_e32 v58, v41
	v_fmac_f32_e32 v44, 0x32a5705f, v37
	v_sub_f32_e32 v40, v40, v45
	v_mfma_f32_32x32x2f32 v[18:33], v127, v159, v[18:33]
	v_mul_f32_e32 v43, 0x3fb8aa3b, v38
	v_fma_f32 v59, v39, s14, -v42
	v_rndne_f32_e32 v60, v42
	v_fmac_f32_e32 v57, 0x32a5705f, v36
	v_sub_f32_e32 v41, v41, v58
	v_add_f32_e32 v40, v40, v44
	v_fma_f32 v61, v38, s14, -v43
	v_rndne_f32_e32 v62, v43
	v_cvt_i32_f32_e32 v45, v45
	v_fmac_f32_e32 v59, 0x32a5705f, v39
	v_sub_f32_e32 v42, v42, v60
	v_add_f32_e32 v41, v41, v57
	v_exp_f32_e32 v40, v40
	v_cvt_i32_f32_e32 v58, v58
	v_fmac_f32_e32 v61, 0x32a5705f, v38
	v_sub_f32_e32 v43, v43, v62
	v_add_f32_e32 v42, v42, v59
	v_exp_f32_e32 v41, v41
	v_cvt_i32_f32_e32 v60, v60
	v_add_f32_e32 v43, v43, v61
	v_exp_f32_e32 v42, v42
	v_cvt_i32_f32_e32 v62, v62
	v_exp_f32_e32 v43, v43
	v_ldexp_f32 v40, v40, v45
	v_cmp_ngt_f32_e32 vcc, s13, v37
	v_ldexp_f32 v41, v41, v58
	v_cndmask_b32_e32 v40, 0, v40, vcc
	v_cmp_ngt_f32_e32 vcc, s13, v36
	v_ldexp_f32 v42, v42, v60
	v_cndmask_b32_e32 v41, 0, v41, vcc
	;; [unrolled: 3-line block ×3, first 2 shown]
	v_cmp_ngt_f32_e32 vcc, s13, v38
	v_cndmask_b32_e32 v43, 0, v43, vcc
	v_cmp_nlt_f32_e32 vcc, s7, v37
	v_cndmask_b32_e32 v37, v52, v40, vcc
	v_cmp_nlt_f32_e32 vcc, s7, v36
	v_cndmask_b32_e32 v36, v52, v41, vcc
	v_pk_add_f32 v[36:37], v[36:37], 1.0 op_sel_hi:[1,0]
	v_div_scale_f32 v40, s[0:1], v37, v37, 1.0
	v_rcp_f32_e32 v41, v40
	v_mfma_f32_32x32x2f32 v[18:33], v128, v160, v[18:33]
	v_cmp_nlt_f32_e32 vcc, s7, v39
	v_cndmask_b32_e32 v39, v52, v42, vcc
	v_cmp_nlt_f32_e32 vcc, s7, v38
	v_fma_f32 v42, -v40, v41, 1.0
	v_cndmask_b32_e32 v38, v52, v43, vcc
	v_fmac_f32_e32 v41, v42, v41
	v_div_scale_f32 v42, vcc, 1.0, v37, 1.0
	v_div_scale_f32 v43, s[0:1], v36, v36, 1.0
	v_rcp_f32_e32 v44, v43
	v_mul_f32_e32 v45, v42, v41
	v_fma_f32 v57, -v40, v45, v42
	v_fmac_f32_e32 v45, v57, v41
	v_fma_f32 v40, -v40, v45, v42
	v_fma_f32 v57, -v43, v44, 1.0
	v_div_fmas_f32 v40, v40, v41, v45
	v_fmac_f32_e32 v44, v57, v44
	v_div_fixup_f32 v37, v40, v37, 1.0
	v_div_scale_f32 v40, vcc, 1.0, v36, 1.0
	v_mul_f32_e32 v41, v40, v44
	v_pk_add_f32 v[38:39], v[38:39], 1.0 op_sel_hi:[1,0]
	v_fma_f32 v42, -v43, v41, v40
	v_fmac_f32_e32 v41, v42, v44
	v_div_scale_f32 v42, s[0:1], v39, v39, 1.0
	v_fma_f32 v40, -v43, v41, v40
	v_rcp_f32_e32 v43, v42
	v_mfma_f32_32x32x2f32 v[18:33], v129, v161, v[18:33]
	v_div_fmas_f32 v40, v40, v44, v41
	v_div_fixup_f32 v36, v40, v36, 1.0
	v_fma_f32 v40, -v42, v43, 1.0
	v_fmac_f32_e32 v43, v40, v43
	v_div_scale_f32 v40, vcc, 1.0, v39, 1.0
	v_mul_f32_e32 v41, v40, v43
	v_fma_f32 v44, -v42, v41, v40
	v_fmac_f32_e32 v41, v44, v43
	v_fma_f32 v40, -v42, v41, v40
	v_div_scale_f32 v42, s[0:1], v38, v38, 1.0
	v_rcp_f32_e32 v44, v42
	v_div_fmas_f32 v40, v40, v43, v41
	v_div_fixup_f32 v39, v40, v39, 1.0
	v_mfma_f32_32x32x2f32 v[18:33], v122, v154, v[18:33]
	v_fma_f32 v40, -v42, v44, 1.0
	v_fmac_f32_e32 v44, v40, v44
	v_div_scale_f32 v40, vcc, 1.0, v38, 1.0
	v_mul_f32_e32 v41, v40, v44
	v_fma_f32 v43, -v42, v41, v40
	v_fmac_f32_e32 v41, v43, v44
	v_fma_f32 v40, -v42, v41, v40
	v_div_fmas_f32 v40, v40, v44, v41
	v_div_fixup_f32 v38, v40, v38, 1.0
	v_pk_mul_f32 v[36:37], v[0:1], v[36:37]
	v_pk_mul_f32 v[34:35], v[34:35], v[38:39]
	v_lshlrev_b32_e32 v0, 2, v56
	v_add_u32_e32 v42, s27, v50
	buffer_store_dwordx4 v[34:37], v0, s[16:19], 0 offen
	v_add_u32_e32 v43, s26, v51
	v_lshlrev_b32_e32 v0, 2, v42
	buffer_load_dwordx4 v[34:37], v0, s[8:11], 0 offen
	v_lshlrev_b32_e32 v0, 2, v43
	buffer_load_dwordx4 v[38:41], v0, s[20:23], 0 offen
	v_mfma_f32_32x32x2f32 v[18:33], v123, v155, v[18:33]
	v_add_u32_e32 v50, s25, v56
	s_waitcnt vmcnt(1) lgkmcnt(0)
	v_pk_add_f32 v[0:1], v[48:49], v[36:37]
	v_mfma_f32_32x32x2f32 v[18:33], v124, v156, v[18:33]
	s_waitcnt vmcnt(0)
	v_pk_add_f32 v[0:1], v[0:1], v[40:41]
	v_pk_add_f32 v[34:35], v[46:47], v[34:35]
	v_pk_mul_f32 v[36:37], v[0:1], s[6:7] op_sel_hi:[1,0]
	v_pk_add_f32 v[34:35], v[34:35], v[38:39]
	v_pk_fma_f32 v[36:37], v[0:1], v[36:37], s[12:13] op_sel_hi:[1,1,0] neg_lo:[1,0,0] neg_hi:[1,0,0]
	v_pk_mul_f32 v[38:39], v[34:35], s[6:7] op_sel_hi:[1,0]
	v_pk_mul_f32 v[36:37], v[0:1], v[36:37]
	v_pk_fma_f32 v[38:39], v[34:35], v[38:39], s[12:13] op_sel_hi:[1,1,0] neg_lo:[1,0,0] neg_hi:[1,0,0]
	v_mul_f32_e32 v40, 0x3fb8aa3b, v37
	v_pk_mul_f32 v[38:39], v[34:35], v[38:39]
	v_mul_f32_e32 v41, 0x3fb8aa3b, v36
	v_fma_f32 v46, v37, s14, -v40
	v_rndne_f32_e32 v47, v40
	v_mul_f32_e32 v44, 0x3fb8aa3b, v39
	v_fma_f32 v48, v36, s14, -v41
	v_mfma_f32_32x32x2f32 v[18:33], v125, v157, v[18:33]
	v_rndne_f32_e32 v49, v41
	v_fmac_f32_e32 v46, 0x32a5705f, v37
	v_sub_f32_e32 v40, v40, v47
	v_mul_f32_e32 v45, 0x3fb8aa3b, v38
	v_fma_f32 v51, v39, s14, -v44
	v_rndne_f32_e32 v56, v44
	v_fmac_f32_e32 v48, 0x32a5705f, v36
	v_sub_f32_e32 v41, v41, v49
	v_add_f32_e32 v40, v40, v46
	v_fma_f32 v57, v38, s14, -v45
	v_rndne_f32_e32 v58, v45
	v_cvt_i32_f32_e32 v47, v47
	v_fmac_f32_e32 v51, 0x32a5705f, v39
	v_sub_f32_e32 v44, v44, v56
	v_add_f32_e32 v41, v41, v48
	v_mfma_f32_32x32x2f32 v[18:33], v114, v150, v[18:33]
	v_exp_f32_e32 v40, v40
	v_cvt_i32_f32_e32 v49, v49
	v_fmac_f32_e32 v57, 0x32a5705f, v38
	v_sub_f32_e32 v45, v45, v58
	v_add_f32_e32 v44, v44, v51
	v_exp_f32_e32 v41, v41
	v_cvt_i32_f32_e32 v56, v56
	v_add_f32_e32 v45, v45, v57
	v_exp_f32_e32 v44, v44
	v_cvt_i32_f32_e32 v58, v58
	v_exp_f32_e32 v45, v45
	v_ldexp_f32 v40, v40, v47
	v_cmp_ngt_f32_e32 vcc, s13, v37
	v_ldexp_f32 v41, v41, v49
	v_cndmask_b32_e32 v40, 0, v40, vcc
	v_mfma_f32_32x32x2f32 v[18:33], v115, v151, v[18:33]
	v_cmp_ngt_f32_e32 vcc, s13, v36
	v_ldexp_f32 v44, v44, v56
	v_cndmask_b32_e32 v41, 0, v41, vcc
	v_cmp_ngt_f32_e32 vcc, s13, v39
	v_ldexp_f32 v45, v45, v58
	v_cndmask_b32_e32 v44, 0, v44, vcc
	v_cmp_ngt_f32_e32 vcc, s13, v38
	v_cndmask_b32_e32 v45, 0, v45, vcc
	v_cmp_nlt_f32_e32 vcc, s7, v37
	v_cndmask_b32_e32 v37, v52, v40, vcc
	v_cmp_nlt_f32_e32 vcc, s7, v36
	;; [unrolled: 2-line block ×3, first 2 shown]
	v_pk_add_f32 v[36:37], v[36:37], 1.0 op_sel_hi:[1,0]
	v_cndmask_b32_e32 v39, v52, v44, vcc
	v_mfma_f32_32x32x2f32 v[18:33], v116, v152, v[18:33]
	v_div_scale_f32 v40, s[0:1], v37, v37, 1.0
	v_cmp_nlt_f32_e32 vcc, s7, v38
	v_rcp_f32_e32 v41, v40
	v_cndmask_b32_e32 v38, v52, v45, vcc
	v_div_scale_f32 v45, s[0:1], v36, v36, 1.0
	v_rcp_f32_e32 v46, v45
	v_fma_f32 v44, -v40, v41, 1.0
	v_fmac_f32_e32 v41, v44, v41
	v_div_scale_f32 v44, vcc, 1.0, v37, 1.0
	v_fma_f32 v47, -v45, v46, 1.0
	v_fmac_f32_e32 v46, v47, v46
	v_mul_f32_e32 v47, v44, v41
	v_mfma_f32_32x32x2f32 v[18:33], v117, v153, v[18:33]
	v_fma_f32 v48, -v40, v47, v44
	v_fmac_f32_e32 v47, v48, v41
	v_fma_f32 v40, -v40, v47, v44
	v_div_fmas_f32 v40, v40, v41, v47
	v_div_fixup_f32 v37, v40, v37, 1.0
	v_div_scale_f32 v40, vcc, 1.0, v36, 1.0
	v_mul_f32_e32 v41, v40, v46
	v_pk_add_f32 v[38:39], v[38:39], 1.0 op_sel_hi:[1,0]
	v_fma_f32 v44, -v45, v41, v40
	v_fmac_f32_e32 v41, v44, v46
	v_div_scale_f32 v44, s[0:1], v39, v39, 1.0
	v_fma_f32 v40, -v45, v41, v40
	v_rcp_f32_e32 v45, v44
	v_div_fmas_f32 v40, v40, v46, v41
	v_div_fixup_f32 v36, v40, v36, 1.0
	v_mfma_f32_32x32x2f32 v[18:33], v102, v146, v[18:33]
	v_fma_f32 v40, -v44, v45, 1.0
	v_fmac_f32_e32 v45, v40, v45
	v_div_scale_f32 v40, vcc, 1.0, v39, 1.0
	v_mul_f32_e32 v41, v40, v45
	v_fma_f32 v46, -v44, v41, v40
	v_fmac_f32_e32 v41, v46, v45
	v_fma_f32 v40, -v44, v41, v40
	v_div_scale_f32 v44, s[0:1], v38, v38, 1.0
	v_rcp_f32_e32 v46, v44
	v_div_fmas_f32 v40, v40, v45, v41
	v_div_fixup_f32 v39, v40, v39, 1.0
	v_pk_mul_f32 v[36:37], v[0:1], v[36:37]
	v_fma_f32 v40, -v44, v46, 1.0
	v_fmac_f32_e32 v46, v40, v46
	v_div_scale_f32 v40, vcc, 1.0, v38, 1.0
	v_mul_f32_e32 v41, v40, v46
	v_fma_f32 v45, -v44, v41, v40
	v_fmac_f32_e32 v41, v45, v46
	v_fma_f32 v40, -v44, v41, v40
	v_div_fmas_f32 v40, v40, v46, v41
	v_div_fixup_f32 v38, v40, v38, 1.0
	v_mfma_f32_32x32x2f32 v[18:33], v103, v147, v[18:33]
	v_pk_mul_f32 v[34:35], v[34:35], v[38:39]
	v_lshlrev_b32_e32 v0, 2, v50
	v_add_u32_e32 v51, s27, v42
	buffer_store_dwordx4 v[34:37], v0, s[16:19], 0 offen
	v_add_u32_e32 v56, s26, v43
	v_lshlrev_b32_e32 v0, 2, v51
	buffer_load_dwordx4 v[34:37], v0, s[8:11], 0 offen
	v_lshlrev_b32_e32 v0, 2, v56
	buffer_load_dwordx4 v[38:41], v0, s[20:23], 0 offen
	ds_read_b128 v[42:45], v53 offset:256
	ds_read_b128 v[46:49], v53 offset:384
	v_add_u32_e32 v50, s25, v50
	s_waitcnt vmcnt(1) lgkmcnt(1)
	v_pk_add_f32 v[0:1], v[44:45], v[36:37]
	v_mfma_f32_32x32x2f32 v[18:33], v104, v148, v[18:33]
	s_waitcnt vmcnt(0)
	v_pk_add_f32 v[0:1], v[0:1], v[40:41]
	v_pk_mul_f32 v[36:37], v[0:1], s[6:7] op_sel_hi:[1,0]
	v_pk_fma_f32 v[36:37], v[0:1], v[36:37], s[12:13] op_sel_hi:[1,1,0] neg_lo:[1,0,0] neg_hi:[1,0,0]
	v_pk_mul_f32 v[36:37], v[0:1], v[36:37]
	v_mul_f32_e32 v40, 0x3fb8aa3b, v37
	v_pk_add_f32 v[34:35], v[42:43], v[34:35]
	v_mul_f32_e32 v41, 0x3fb8aa3b, v36
	v_fma_f32 v44, v37, s14, -v40
	v_rndne_f32_e32 v45, v40
	v_pk_add_f32 v[34:35], v[34:35], v[38:39]
	v_fma_f32 v57, v36, s14, -v41
	v_rndne_f32_e32 v58, v41
	v_fmac_f32_e32 v44, 0x32a5705f, v37
	v_sub_f32_e32 v40, v40, v45
	v_pk_mul_f32 v[38:39], v[34:35], s[6:7] op_sel_hi:[1,0]
	v_mfma_f32_32x32x2f32 v[18:33], v105, v149, v[18:33]
	v_fmac_f32_e32 v57, 0x32a5705f, v36
	v_sub_f32_e32 v41, v41, v58
	v_add_f32_e32 v40, v40, v44
	v_pk_fma_f32 v[38:39], v[34:35], v[38:39], s[12:13] op_sel_hi:[1,1,0] neg_lo:[1,0,0] neg_hi:[1,0,0]
	v_cvt_i32_f32_e32 v45, v45
	v_add_f32_e32 v41, v41, v57
	v_exp_f32_e32 v40, v40
	v_pk_mul_f32 v[38:39], v[34:35], v[38:39]
	v_cvt_i32_f32_e32 v58, v58
	v_exp_f32_e32 v41, v41
	v_mul_f32_e32 v42, 0x3fb8aa3b, v39
	v_fma_f32 v59, v39, s14, -v42
	v_rndne_f32_e32 v60, v42
	v_fmac_f32_e32 v59, 0x32a5705f, v39
	v_sub_f32_e32 v42, v42, v60
	v_mfma_f32_32x32x2f32 v[18:33], v98, v142, v[18:33]
	v_ldexp_f32 v40, v40, v45
	v_cmp_ngt_f32_e32 vcc, s13, v37
	v_mul_f32_e32 v43, 0x3fb8aa3b, v38
	v_add_f32_e32 v42, v42, v59
	v_ldexp_f32 v41, v41, v58
	v_cndmask_b32_e32 v40, 0, v40, vcc
	v_cmp_ngt_f32_e32 vcc, s13, v36
	v_fma_f32 v61, v38, s14, -v43
	v_rndne_f32_e32 v62, v43
	v_cvt_i32_f32_e32 v60, v60
	v_exp_f32_e32 v42, v42
	v_cndmask_b32_e32 v41, 0, v41, vcc
	v_cmp_nlt_f32_e32 vcc, s7, v37
	v_fmac_f32_e32 v61, 0x32a5705f, v38
	v_sub_f32_e32 v43, v43, v62
	v_mfma_f32_32x32x2f32 v[18:33], v99, v143, v[18:33]
	v_cndmask_b32_e32 v37, v52, v40, vcc
	v_cmp_nlt_f32_e32 vcc, s7, v36
	v_add_f32_e32 v43, v43, v61
	v_cndmask_b32_e32 v36, v52, v41, vcc
	v_cvt_i32_f32_e32 v62, v62
	v_exp_f32_e32 v43, v43
	v_pk_add_f32 v[36:37], v[36:37], 1.0 op_sel_hi:[1,0]
	v_ldexp_f32 v42, v42, v60
	v_cmp_ngt_f32_e32 vcc, s13, v39
	v_div_scale_f32 v41, s[0:1], v37, v37, 1.0
	v_cndmask_b32_e32 v40, 0, v42, vcc
	v_rcp_f32_e32 v42, v41
	v_cmp_nlt_f32_e32 vcc, s7, v39
	v_cndmask_b32_e32 v39, v52, v40, vcc
	v_mfma_f32_32x32x2f32 v[18:33], v100, v144, v[18:33]
	v_ldexp_f32 v40, v43, v62
	v_cmp_ngt_f32_e32 vcc, s13, v38
	v_cndmask_b32_e32 v40, 0, v40, vcc
	v_cmp_nlt_f32_e32 vcc, s7, v38
	v_cndmask_b32_e32 v38, v52, v40, vcc
	v_fma_f32 v40, -v41, v42, 1.0
	v_fmac_f32_e32 v42, v40, v42
	v_div_scale_f32 v40, vcc, 1.0, v37, 1.0
	v_mul_f32_e32 v43, v40, v42
	v_fma_f32 v44, -v41, v43, v40
	v_fmac_f32_e32 v43, v44, v42
	v_fma_f32 v40, -v41, v43, v40
	v_div_scale_f32 v41, s[0:1], v36, v36, 1.0
	v_mfma_f32_32x32x2f32 v[18:33], v101, v145, v[18:33]
	v_rcp_f32_e32 v44, v41
	v_div_fmas_f32 v40, v40, v42, v43
	v_div_fixup_f32 v37, v40, v37, 1.0
	v_pk_add_f32 v[38:39], v[38:39], 1.0 op_sel_hi:[1,0]
	v_fma_f32 v40, -v41, v44, 1.0
	v_fmac_f32_e32 v44, v40, v44
	v_div_scale_f32 v40, vcc, 1.0, v36, 1.0
	v_mul_f32_e32 v42, v40, v44
	v_fma_f32 v43, -v41, v42, v40
	v_fmac_f32_e32 v42, v43, v44
	v_fma_f32 v40, -v41, v42, v40
	v_div_scale_f32 v41, s[0:1], v39, v39, 1.0
	v_rcp_f32_e32 v43, v41
	v_mfma_f32_32x32x2f32 v[18:33], v94, v138, v[18:33]
	v_div_fmas_f32 v40, v40, v44, v42
	v_div_fixup_f32 v36, v40, v36, 1.0
	v_fma_f32 v40, -v41, v43, 1.0
	v_fmac_f32_e32 v43, v40, v43
	v_div_scale_f32 v40, vcc, 1.0, v39, 1.0
	v_mul_f32_e32 v42, v40, v43
	v_fma_f32 v44, -v41, v42, v40
	v_fmac_f32_e32 v42, v44, v43
	v_fma_f32 v40, -v41, v42, v40
	v_div_scale_f32 v41, s[0:1], v38, v38, 1.0
	v_rcp_f32_e32 v44, v41
	v_div_fmas_f32 v40, v40, v43, v42
	v_div_fixup_f32 v39, v40, v39, 1.0
	v_mfma_f32_32x32x2f32 v[18:33], v95, v139, v[18:33]
	v_fma_f32 v40, -v41, v44, 1.0
	v_fmac_f32_e32 v44, v40, v44
	v_div_scale_f32 v40, vcc, 1.0, v38, 1.0
	v_mul_f32_e32 v42, v40, v44
	v_fma_f32 v43, -v41, v42, v40
	v_fmac_f32_e32 v42, v43, v44
	v_fma_f32 v40, -v41, v42, v40
	v_div_fmas_f32 v40, v40, v44, v42
	v_div_fixup_f32 v38, v40, v38, 1.0
	v_pk_mul_f32 v[36:37], v[0:1], v[36:37]
	v_pk_mul_f32 v[34:35], v[34:35], v[38:39]
	v_lshlrev_b32_e32 v0, 2, v50
	buffer_store_dwordx4 v[34:37], v0, s[16:19], 0 offen
	v_add_u32_e32 v0, s27, v51
	v_mfma_f32_32x32x2f32 v[18:33], v96, v140, v[18:33]
	v_add_u32_e32 v42, s26, v56
	v_lshlrev_b32_e32 v1, 2, v0
	buffer_load_dwordx4 v[34:37], v1, s[8:11], 0 offen
	v_lshlrev_b32_e32 v1, 2, v42
	buffer_load_dwordx4 v[38:41], v1, s[20:23], 0 offen
	v_add_u32_e32 v44, s25, v50
	s_waitcnt vmcnt(1) lgkmcnt(0)
	v_pk_add_f32 v[36:37], v[48:49], v[36:37]
	v_mfma_f32_32x32x2f32 v[18:33], v97, v141, v[18:33]
	v_pk_add_f32 v[34:35], v[46:47], v[34:35]
	s_waitcnt vmcnt(0)
	v_pk_add_f32 v[36:37], v[36:37], v[40:41]
	v_pk_add_f32 v[34:35], v[34:35], v[38:39]
	v_pk_mul_f32 v[38:39], v[36:37], s[6:7] op_sel_hi:[1,0]
	v_pk_fma_f32 v[38:39], v[36:37], v[38:39], s[12:13] op_sel_hi:[1,1,0] neg_lo:[1,0,0] neg_hi:[1,0,0]
	v_pk_mul_f32 v[38:39], v[36:37], v[38:39]
	v_mul_f32_e32 v1, 0x3fb8aa3b, v39
	v_fma_f32 v45, v39, s14, -v1
	v_rndne_f32_e32 v46, v1
	v_mul_f32_e32 v43, 0x3fb8aa3b, v38
	v_fmac_f32_e32 v45, 0x32a5705f, v39
	v_sub_f32_e32 v1, v1, v46
	v_add_f32_e32 v1, v1, v45
	v_fma_f32 v45, v38, s14, -v43
	v_rndne_f32_e32 v47, v43
	v_mfma_f32_32x32x2f32 v[18:33], v82, v134, v[18:33]
	v_cvt_i32_f32_e32 v46, v46
	v_exp_f32_e32 v1, v1
	v_fmac_f32_e32 v45, 0x32a5705f, v38
	v_sub_f32_e32 v43, v43, v47
	v_add_f32_e32 v43, v43, v45
	v_exp_f32_e32 v43, v43
	v_cvt_i32_f32_e32 v45, v47
	v_pk_mul_f32 v[40:41], v[34:35], s[6:7] op_sel_hi:[1,0]
	v_pk_fma_f32 v[40:41], v[34:35], v[40:41], s[12:13] op_sel_hi:[1,1,0] neg_lo:[1,0,0] neg_hi:[1,0,0]
	v_ldexp_f32 v1, v1, v46
	v_cmp_ngt_f32_e32 vcc, s13, v39
	v_pk_mul_f32 v[40:41], v[34:35], v[40:41]
	v_cndmask_b32_e32 v1, 0, v1, vcc
	v_cmp_nlt_f32_e32 vcc, s7, v39
	v_cndmask_b32_e32 v39, v52, v1, vcc
	v_mfma_f32_32x32x2f32 v[18:33], v83, v135, v[18:33]
	v_ldexp_f32 v1, v43, v45
	v_mul_f32_e32 v43, 0x3fb8aa3b, v41
	v_fma_f32 v45, v41, s14, -v43
	v_rndne_f32_e32 v46, v43
	v_fmac_f32_e32 v45, 0x32a5705f, v41
	v_sub_f32_e32 v43, v43, v46
	v_add_f32_e32 v43, v43, v45
	v_exp_f32_e32 v43, v43
	v_cvt_i32_f32_e32 v45, v46
	v_cmp_ngt_f32_e32 vcc, s13, v38
	v_cndmask_b32_e32 v1, 0, v1, vcc
	v_cmp_nlt_f32_e32 vcc, s7, v38
	v_cndmask_b32_e32 v38, v52, v1, vcc
	v_ldexp_f32 v1, v43, v45
	v_mul_f32_e32 v43, 0x3fb8aa3b, v40
	v_mfma_f32_32x32x2f32 v[18:33], v84, v136, v[18:33]
	v_fma_f32 v45, v40, s14, -v43
	v_rndne_f32_e32 v46, v43
	v_fmac_f32_e32 v45, 0x32a5705f, v40
	v_sub_f32_e32 v43, v43, v46
	v_add_f32_e32 v43, v43, v45
	v_exp_f32_e32 v43, v43
	v_cvt_i32_f32_e32 v45, v46
	v_cmp_ngt_f32_e32 vcc, s13, v41
	v_cndmask_b32_e32 v1, 0, v1, vcc
	v_cmp_nlt_f32_e32 vcc, s7, v41
	v_pk_add_f32 v[38:39], v[38:39], 1.0 op_sel_hi:[1,0]
	v_cndmask_b32_e32 v41, v52, v1, vcc
	v_ldexp_f32 v1, v43, v45
	v_div_scale_f32 v43, s[0:1], v39, v39, 1.0
	v_mfma_f32_32x32x2f32 v[18:33], v85, v137, v[18:33]
	v_rcp_f32_e32 v45, v43
	v_cmp_ngt_f32_e32 vcc, s13, v40
	v_cndmask_b32_e32 v1, 0, v1, vcc
	v_cmp_nlt_f32_e32 vcc, s7, v40
	v_cndmask_b32_e32 v40, v52, v1, vcc
	v_fma_f32 v1, -v43, v45, 1.0
	v_fmac_f32_e32 v45, v1, v45
	v_div_scale_f32 v1, vcc, 1.0, v39, 1.0
	v_mul_f32_e32 v46, v1, v45
	v_fma_f32 v47, -v43, v46, v1
	v_fmac_f32_e32 v46, v47, v45
	v_fma_f32 v1, -v43, v46, v1
	v_div_scale_f32 v43, s[0:1], v38, v38, 1.0
	v_mfma_f32_32x32x2f32 v[18:33], v74, v130, v[18:33]
	v_rcp_f32_e32 v47, v43
	v_div_fmas_f32 v1, v1, v45, v46
	v_div_fixup_f32 v39, v1, v39, 1.0
	v_pk_add_f32 v[40:41], v[40:41], 1.0 op_sel_hi:[1,0]
	v_fma_f32 v1, -v43, v47, 1.0
	v_fmac_f32_e32 v47, v1, v47
	v_div_scale_f32 v1, vcc, 1.0, v38, 1.0
	v_mul_f32_e32 v45, v1, v47
	v_fma_f32 v46, -v43, v45, v1
	v_fmac_f32_e32 v45, v46, v47
	v_fma_f32 v1, -v43, v45, v1
	v_div_scale_f32 v43, s[0:1], v41, v41, 1.0
	v_rcp_f32_e32 v46, v43
	v_mfma_f32_32x32x2f32 v[18:33], v75, v131, v[18:33]
	v_div_fmas_f32 v1, v1, v47, v45
	v_div_fixup_f32 v38, v1, v38, 1.0
	v_fma_f32 v1, -v43, v46, 1.0
	v_fmac_f32_e32 v46, v1, v46
	v_div_scale_f32 v1, vcc, 1.0, v41, 1.0
	v_mul_f32_e32 v45, v1, v46
	v_fma_f32 v47, -v43, v45, v1
	v_fmac_f32_e32 v45, v47, v46
	v_fma_f32 v1, -v43, v45, v1
	v_div_scale_f32 v43, s[0:1], v40, v40, 1.0
	v_rcp_f32_e32 v47, v43
	v_div_fmas_f32 v1, v1, v46, v45
	v_div_fixup_f32 v41, v1, v41, 1.0
	v_mfma_f32_32x32x2f32 v[18:33], v76, v132, v[18:33]
	v_fma_f32 v1, -v43, v47, 1.0
	v_fmac_f32_e32 v47, v1, v47
	v_div_scale_f32 v1, vcc, 1.0, v40, 1.0
	v_mul_f32_e32 v45, v1, v47
	v_fma_f32 v46, -v43, v45, v1
	v_fmac_f32_e32 v45, v46, v47
	v_fma_f32 v1, -v43, v45, v1
	v_div_fmas_f32 v1, v1, v47, v45
	v_div_fixup_f32 v40, v1, v40, 1.0
	v_pk_mul_f32 v[36:37], v[36:37], v[38:39]
	v_pk_mul_f32 v[34:35], v[34:35], v[40:41]
	v_lshlrev_b32_e32 v1, 2, v44
	buffer_store_dwordx4 v[34:37], v1, s[16:19], 0 offen
	v_mad_u64_u32 v[0:1], s[0:1], s27, 29, v[0:1]
	v_mfma_f32_32x32x2f32 v[18:33], v77, v133, v[18:33]
	v_mad_u64_u32 v[34:35], s[0:1], s26, 29, v[42:43]
	v_lshlrev_b32_e32 v1, 2, v0
	s_waitcnt lgkmcnt(0)
	; wave barrier
	s_nop 7
	s_nop 7
	ds_write2_b32 v191, v18, v19 offset1:32
	ds_write2_b32 v191, v20, v21 offset0:64 offset1:96
	ds_write2_b32 v194, v24, v25 offset0:64 offset1:96
	ds_write2_b32 v194, v22, v23 offset1:32
	ds_write2_b32 v54, v26, v27 offset1:32
	ds_write2_b32 v54, v28, v29 offset0:64 offset1:96
	ds_write2_b32 v55, v32, v33 offset0:64 offset1:96
	ds_write2_b32 v55, v30, v31 offset1:32
	s_waitcnt lgkmcnt(0)
	; wave barrier
	buffer_load_dwordx4 v[20:23], v1, s[8:11], 0 offen
	v_lshlrev_b32_e32 v1, 2, v34
	buffer_load_dwordx4 v[24:27], v1, s[20:23], 0 offen
	ds_read_b128 v[28:31], v53
	ds_read_b128 v[36:39], v53 offset:128
	v_mad_u64_u32 v[18:19], s[0:1], s25, 29, v[44:45]
	v_mfma_f32_32x32x2f32 v[2:17], v126, v118, v[2:17]
	v_add_u32_e32 v32, s25, v18
	s_waitcnt vmcnt(1) lgkmcnt(1)
	v_pk_add_f32 v[22:23], v[30:31], v[22:23]
	v_pk_add_f32 v[20:21], v[28:29], v[20:21]
	s_waitcnt vmcnt(0)
	v_pk_add_f32 v[22:23], v[22:23], v[26:27]
	v_pk_add_f32 v[20:21], v[20:21], v[24:25]
	v_pk_mul_f32 v[24:25], v[22:23], s[6:7] op_sel_hi:[1,0]
	v_pk_fma_f32 v[24:25], v[22:23], v[24:25], s[12:13] op_sel_hi:[1,1,0] neg_lo:[1,0,0] neg_hi:[1,0,0]
	v_pk_mul_f32 v[24:25], v[22:23], v[24:25]
	v_mul_f32_e32 v1, 0x3fb8aa3b, v25
	v_fma_f32 v19, v25, s14, -v1
	v_rndne_f32_e32 v26, v1
	v_fmac_f32_e32 v19, 0x32a5705f, v25
	v_sub_f32_e32 v1, v1, v26
	v_add_f32_e32 v1, v1, v19
	v_exp_f32_e32 v1, v1
	v_cvt_i32_f32_e32 v19, v26
	v_pk_mul_f32 v[26:27], v[20:21], s[6:7] op_sel_hi:[1,0]
	v_pk_fma_f32 v[26:27], v[20:21], v[26:27], s[12:13] op_sel_hi:[1,1,0] neg_lo:[1,0,0] neg_hi:[1,0,0]
	v_cmp_ngt_f32_e32 vcc, s13, v25
	v_ldexp_f32 v1, v1, v19
	v_mul_f32_e32 v19, 0x3fb8aa3b, v24
	v_fma_f32 v28, v24, s14, -v19
	v_rndne_f32_e32 v29, v19
	v_fmac_f32_e32 v28, 0x32a5705f, v24
	v_sub_f32_e32 v19, v19, v29
	v_add_f32_e32 v19, v19, v28
	v_exp_f32_e32 v19, v19
	v_cvt_i32_f32_e32 v28, v29
	v_pk_mul_f32 v[26:27], v[20:21], v[26:27]
	v_cndmask_b32_e32 v1, 0, v1, vcc
	v_cmp_nlt_f32_e32 vcc, s7, v25
	v_cndmask_b32_e32 v25, v52, v1, vcc
	v_ldexp_f32 v1, v19, v28
	v_mul_f32_e32 v19, 0x3fb8aa3b, v27
	v_fma_f32 v28, v27, s14, -v19
	v_rndne_f32_e32 v29, v19
	v_fmac_f32_e32 v28, 0x32a5705f, v27
	v_sub_f32_e32 v19, v19, v29
	v_add_f32_e32 v19, v19, v28
	v_exp_f32_e32 v19, v19
	v_cvt_i32_f32_e32 v28, v29
	v_cmp_ngt_f32_e32 vcc, s13, v24
	v_cndmask_b32_e32 v1, 0, v1, vcc
	v_cmp_nlt_f32_e32 vcc, s7, v24
	v_cndmask_b32_e32 v24, v52, v1, vcc
	v_ldexp_f32 v1, v19, v28
	v_mul_f32_e32 v19, 0x3fb8aa3b, v26
	v_fma_f32 v28, v26, s14, -v19
	v_rndne_f32_e32 v29, v19
	v_fmac_f32_e32 v28, 0x32a5705f, v26
	v_sub_f32_e32 v19, v19, v29
	v_add_f32_e32 v19, v19, v28
	v_exp_f32_e32 v19, v19
	v_cvt_i32_f32_e32 v28, v29
	v_cmp_ngt_f32_e32 vcc, s13, v27
	v_cndmask_b32_e32 v1, 0, v1, vcc
	v_cmp_nlt_f32_e32 vcc, s7, v27
	v_pk_add_f32 v[24:25], v[24:25], 1.0 op_sel_hi:[1,0]
	v_cndmask_b32_e32 v27, v52, v1, vcc
	v_ldexp_f32 v1, v19, v28
	v_div_scale_f32 v19, s[0:1], v25, v25, 1.0
	v_rcp_f32_e32 v28, v19
	v_cmp_ngt_f32_e32 vcc, s13, v26
	v_cndmask_b32_e32 v1, 0, v1, vcc
	v_cmp_nlt_f32_e32 vcc, s7, v26
	v_cndmask_b32_e32 v26, v52, v1, vcc
	v_fma_f32 v1, -v19, v28, 1.0
	v_fmac_f32_e32 v28, v1, v28
	v_div_scale_f32 v1, vcc, 1.0, v25, 1.0
	v_mul_f32_e32 v29, v1, v28
	v_fma_f32 v30, -v19, v29, v1
	v_fmac_f32_e32 v29, v30, v28
	v_fma_f32 v1, -v19, v29, v1
	v_div_scale_f32 v19, s[0:1], v24, v24, 1.0
	v_rcp_f32_e32 v30, v19
	v_div_fmas_f32 v1, v1, v28, v29
	v_div_fixup_f32 v25, v1, v25, 1.0
	v_pk_add_f32 v[26:27], v[26:27], 1.0 op_sel_hi:[1,0]
	v_fma_f32 v1, -v19, v30, 1.0
	v_fmac_f32_e32 v30, v1, v30
	v_div_scale_f32 v1, vcc, 1.0, v24, 1.0
	v_mul_f32_e32 v28, v1, v30
	v_fma_f32 v29, -v19, v28, v1
	v_fmac_f32_e32 v28, v29, v30
	v_fma_f32 v1, -v19, v28, v1
	v_div_scale_f32 v19, s[0:1], v27, v27, 1.0
	v_rcp_f32_e32 v29, v19
	v_div_fmas_f32 v1, v1, v30, v28
	v_mfma_f32_32x32x2f32 v[2:17], v127, v119, v[2:17]
	v_div_fixup_f32 v24, v1, v24, 1.0
	v_fma_f32 v1, -v19, v29, 1.0
	v_fmac_f32_e32 v29, v1, v29
	v_div_scale_f32 v1, vcc, 1.0, v27, 1.0
	v_mul_f32_e32 v28, v1, v29
	v_fma_f32 v30, -v19, v28, v1
	v_fmac_f32_e32 v28, v30, v29
	v_fma_f32 v1, -v19, v28, v1
	v_div_scale_f32 v19, s[0:1], v26, v26, 1.0
	v_rcp_f32_e32 v30, v19
	v_div_fmas_f32 v1, v1, v29, v28
	v_div_fixup_f32 v27, v1, v27, 1.0
	v_pk_mul_f32 v[22:23], v[22:23], v[24:25]
	v_fma_f32 v1, -v19, v30, 1.0
	v_fmac_f32_e32 v30, v1, v30
	v_div_scale_f32 v1, vcc, 1.0, v26, 1.0
	v_mul_f32_e32 v28, v1, v30
	v_fma_f32 v29, -v19, v28, v1
	v_fmac_f32_e32 v28, v29, v30
	v_fma_f32 v1, -v19, v28, v1
	v_mfma_f32_32x32x2f32 v[2:17], v128, v120, v[2:17]
	v_div_fmas_f32 v1, v1, v30, v28
	v_div_fixup_f32 v26, v1, v26, 1.0
	v_pk_mul_f32 v[20:21], v[20:21], v[26:27]
	v_lshlrev_b32_e32 v1, 2, v18
	buffer_store_dwordx4 v[20:23], v1, s[16:19], 0 offen
	v_add_u32_e32 v1, s27, v0
	v_add_u32_e32 v19, s26, v34
	v_lshlrev_b32_e32 v20, 2, v1
	buffer_load_dwordx4 v[20:23], v20, s[8:11], 0 offen
	v_lshlrev_b32_e32 v24, 2, v19
	buffer_load_dwordx4 v[24:27], v24, s[20:23], 0 offen
	v_add_u32_e32 v1, s27, v1
	v_add_u32_e32 v19, s26, v19
	s_waitcnt vmcnt(1) lgkmcnt(0)
	v_pk_add_f32 v[22:23], v[38:39], v[22:23]
	v_mfma_f32_32x32x2f32 v[2:17], v129, v121, v[2:17]
	v_pk_add_f32 v[20:21], v[36:37], v[20:21]
	s_waitcnt vmcnt(0)
	v_pk_add_f32 v[22:23], v[22:23], v[26:27]
	v_pk_add_f32 v[20:21], v[20:21], v[24:25]
	v_pk_mul_f32 v[24:25], v[22:23], s[6:7] op_sel_hi:[1,0]
	v_pk_fma_f32 v[24:25], v[22:23], v[24:25], s[12:13] op_sel_hi:[1,1,0] neg_lo:[1,0,0] neg_hi:[1,0,0]
	v_pk_mul_f32 v[24:25], v[22:23], v[24:25]
	v_mul_f32_e32 v28, 0x3fb8aa3b, v25
	v_fma_f32 v30, v25, s14, -v28
	v_rndne_f32_e32 v31, v28
	v_mul_f32_e32 v29, 0x3fb8aa3b, v24
	v_fmac_f32_e32 v30, 0x32a5705f, v25
	v_sub_f32_e32 v28, v28, v31
	v_pk_mul_f32 v[26:27], v[20:21], s[6:7] op_sel_hi:[1,0]
	v_fma_f32 v33, v24, s14, -v29
	v_rndne_f32_e32 v35, v29
	v_mfma_f32_32x32x2f32 v[2:17], v122, v110, v[2:17]
	v_add_f32_e32 v28, v28, v30
	v_pk_fma_f32 v[26:27], v[20:21], v[26:27], s[12:13] op_sel_hi:[1,1,0] neg_lo:[1,0,0] neg_hi:[1,0,0]
	v_cvt_i32_f32_e32 v31, v31
	v_fmac_f32_e32 v33, 0x32a5705f, v24
	v_sub_f32_e32 v29, v29, v35
	v_exp_f32_e32 v28, v28
	v_pk_mul_f32 v[26:27], v[20:21], v[26:27]
	v_add_f32_e32 v29, v29, v33
	v_exp_f32_e32 v29, v29
	v_cvt_i32_f32_e32 v30, v35
	v_mul_f32_e32 v33, 0x3fb8aa3b, v27
	v_fma_f32 v35, v27, s14, -v33
	v_rndne_f32_e32 v36, v33
	v_fmac_f32_e32 v35, 0x32a5705f, v27
	v_sub_f32_e32 v33, v33, v36
	v_mfma_f32_32x32x2f32 v[2:17], v123, v111, v[2:17]
	v_ldexp_f32 v28, v28, v31
	v_cmp_ngt_f32_e32 vcc, s13, v25
	v_add_f32_e32 v33, v33, v35
	v_cndmask_b32_e32 v28, 0, v28, vcc
	v_cmp_nlt_f32_e32 vcc, s7, v25
	v_ldexp_f32 v29, v29, v30
	v_cndmask_b32_e32 v25, v52, v28, vcc
	v_exp_f32_e32 v28, v33
	v_cvt_i32_f32_e32 v30, v36
	v_cmp_ngt_f32_e32 vcc, s13, v24
	v_cndmask_b32_e32 v29, 0, v29, vcc
	v_cmp_nlt_f32_e32 vcc, s7, v24
	v_cndmask_b32_e32 v24, v52, v29, vcc
	v_mul_f32_e32 v29, 0x3fb8aa3b, v26
	v_ldexp_f32 v28, v28, v30
	v_mfma_f32_32x32x2f32 v[2:17], v124, v112, v[2:17]
	v_fma_f32 v30, v26, s14, -v29
	v_rndne_f32_e32 v31, v29
	v_fmac_f32_e32 v30, 0x32a5705f, v26
	v_sub_f32_e32 v29, v29, v31
	v_add_f32_e32 v29, v29, v30
	v_exp_f32_e32 v29, v29
	v_cvt_i32_f32_e32 v30, v31
	v_cmp_ngt_f32_e32 vcc, s13, v27
	v_cndmask_b32_e32 v28, 0, v28, vcc
	v_cmp_nlt_f32_e32 vcc, s7, v27
	v_pk_add_f32 v[24:25], v[24:25], 1.0 op_sel_hi:[1,0]
	v_cndmask_b32_e32 v27, v52, v28, vcc
	v_ldexp_f32 v28, v29, v30
	v_div_scale_f32 v29, s[0:1], v25, v25, 1.0
	v_mfma_f32_32x32x2f32 v[2:17], v125, v113, v[2:17]
	v_rcp_f32_e32 v30, v29
	v_cmp_ngt_f32_e32 vcc, s13, v26
	v_cndmask_b32_e32 v28, 0, v28, vcc
	v_cmp_nlt_f32_e32 vcc, s7, v26
	v_cndmask_b32_e32 v26, v52, v28, vcc
	v_fma_f32 v28, -v29, v30, 1.0
	v_fmac_f32_e32 v30, v28, v30
	v_div_scale_f32 v28, vcc, 1.0, v25, 1.0
	v_mul_f32_e32 v31, v28, v30
	v_fma_f32 v33, -v29, v31, v28
	v_fmac_f32_e32 v31, v33, v30
	v_fma_f32 v28, -v29, v31, v28
	v_div_scale_f32 v29, s[0:1], v24, v24, 1.0
	v_mfma_f32_32x32x2f32 v[2:17], v114, v106, v[2:17]
	v_rcp_f32_e32 v33, v29
	v_div_fmas_f32 v28, v28, v30, v31
	v_div_fixup_f32 v25, v28, v25, 1.0
	v_pk_add_f32 v[26:27], v[26:27], 1.0 op_sel_hi:[1,0]
	v_fma_f32 v28, -v29, v33, 1.0
	v_fmac_f32_e32 v33, v28, v33
	v_div_scale_f32 v28, vcc, 1.0, v24, 1.0
	v_mul_f32_e32 v30, v28, v33
	v_fma_f32 v31, -v29, v30, v28
	v_fmac_f32_e32 v30, v31, v33
	v_fma_f32 v28, -v29, v30, v28
	v_div_scale_f32 v29, s[0:1], v27, v27, 1.0
	v_rcp_f32_e32 v31, v29
	v_mfma_f32_32x32x2f32 v[2:17], v115, v107, v[2:17]
	v_div_fmas_f32 v28, v28, v33, v30
	v_div_fixup_f32 v24, v28, v24, 1.0
	v_fma_f32 v28, -v29, v31, 1.0
	v_fmac_f32_e32 v31, v28, v31
	v_div_scale_f32 v28, vcc, 1.0, v27, 1.0
	v_mul_f32_e32 v30, v28, v31
	v_fma_f32 v33, -v29, v30, v28
	v_fmac_f32_e32 v30, v33, v31
	v_fma_f32 v28, -v29, v30, v28
	v_div_scale_f32 v29, s[0:1], v26, v26, 1.0
	v_rcp_f32_e32 v33, v29
	v_div_fmas_f32 v28, v28, v31, v30
	v_div_fixup_f32 v27, v28, v27, 1.0
	v_mfma_f32_32x32x2f32 v[2:17], v116, v108, v[2:17]
	v_fma_f32 v28, -v29, v33, 1.0
	v_fmac_f32_e32 v33, v28, v33
	v_div_scale_f32 v28, vcc, 1.0, v26, 1.0
	v_mul_f32_e32 v30, v28, v33
	v_fma_f32 v31, -v29, v30, v28
	v_fmac_f32_e32 v30, v31, v33
	v_fma_f32 v28, -v29, v30, v28
	v_div_fmas_f32 v28, v28, v33, v30
	v_div_fixup_f32 v26, v28, v26, 1.0
	v_pk_mul_f32 v[22:23], v[22:23], v[24:25]
	v_pk_mul_f32 v[20:21], v[20:21], v[26:27]
	v_lshlrev_b32_e32 v24, 2, v32
	buffer_store_dwordx4 v[20:23], v24, s[16:19], 0 offen
	v_lshlrev_b32_e32 v24, 2, v19
	v_mfma_f32_32x32x2f32 v[2:17], v117, v109, v[2:17]
	v_lshlrev_b32_e32 v20, 2, v1
	buffer_load_dwordx4 v[20:23], v20, s[8:11], 0 offen
	ds_read_b128 v[28:31], v53 offset:256
	ds_read_b128 v[36:39], v53 offset:384
	buffer_load_dwordx4 v[24:27], v24, s[20:23], 0 offen
	v_add_u32_e32 v32, s25, v32
	v_add_lshl_u32 v1, v1, s27, 2
	s_waitcnt vmcnt(1) lgkmcnt(1)
	v_pk_add_f32 v[22:23], v[30:31], v[22:23]
	v_mfma_f32_32x32x2f32 v[2:17], v102, v90, v[2:17]
	v_pk_add_f32 v[20:21], v[28:29], v[20:21]
	s_waitcnt vmcnt(0)
	v_pk_add_f32 v[22:23], v[22:23], v[26:27]
	v_pk_add_f32 v[20:21], v[20:21], v[24:25]
	v_pk_mul_f32 v[24:25], v[22:23], s[6:7] op_sel_hi:[1,0]
	v_pk_fma_f32 v[24:25], v[22:23], v[24:25], s[12:13] op_sel_hi:[1,1,0] neg_lo:[1,0,0] neg_hi:[1,0,0]
	v_pk_mul_f32 v[24:25], v[22:23], v[24:25]
	v_mul_f32_e32 v26, 0x3fb8aa3b, v25
	v_fma_f32 v27, v25, s14, -v26
	v_rndne_f32_e32 v28, v26
	v_fmac_f32_e32 v27, 0x32a5705f, v25
	v_sub_f32_e32 v26, v26, v28
	v_add_f32_e32 v26, v26, v27
	v_exp_f32_e32 v29, v26
	v_cvt_i32_f32_e32 v28, v28
	v_pk_mul_f32 v[26:27], v[20:21], s[6:7] op_sel_hi:[1,0]
	v_mfma_f32_32x32x2f32 v[2:17], v103, v91, v[2:17]
	v_pk_fma_f32 v[26:27], v[20:21], v[26:27], s[12:13] op_sel_hi:[1,1,0] neg_lo:[1,0,0] neg_hi:[1,0,0]
	v_ldexp_f32 v28, v29, v28
	v_mul_f32_e32 v29, 0x3fb8aa3b, v24
	v_fma_f32 v30, v24, s14, -v29
	v_rndne_f32_e32 v31, v29
	v_fmac_f32_e32 v30, 0x32a5705f, v24
	v_sub_f32_e32 v29, v29, v31
	v_add_f32_e32 v29, v29, v30
	v_exp_f32_e32 v29, v29
	v_cvt_i32_f32_e32 v30, v31
	v_cmp_ngt_f32_e32 vcc, s13, v25
	v_pk_mul_f32 v[26:27], v[20:21], v[26:27]
	v_cndmask_b32_e32 v28, 0, v28, vcc
	v_cmp_nlt_f32_e32 vcc, s7, v25
	v_cndmask_b32_e32 v25, v52, v28, vcc
	v_mfma_f32_32x32x2f32 v[2:17], v104, v92, v[2:17]
	v_ldexp_f32 v28, v29, v30
	v_mul_f32_e32 v29, 0x3fb8aa3b, v27
	v_fma_f32 v30, v27, s14, -v29
	v_rndne_f32_e32 v31, v29
	v_fmac_f32_e32 v30, 0x32a5705f, v27
	v_sub_f32_e32 v29, v29, v31
	v_add_f32_e32 v29, v29, v30
	v_exp_f32_e32 v29, v29
	v_cvt_i32_f32_e32 v30, v31
	v_cmp_ngt_f32_e32 vcc, s13, v24
	v_cndmask_b32_e32 v28, 0, v28, vcc
	v_cmp_nlt_f32_e32 vcc, s7, v24
	v_cndmask_b32_e32 v24, v52, v28, vcc
	v_ldexp_f32 v28, v29, v30
	v_mul_f32_e32 v29, 0x3fb8aa3b, v26
	v_mfma_f32_32x32x2f32 v[2:17], v105, v93, v[2:17]
	v_fma_f32 v30, v26, s14, -v29
	v_rndne_f32_e32 v31, v29
	v_fmac_f32_e32 v30, 0x32a5705f, v26
	v_sub_f32_e32 v29, v29, v31
	v_add_f32_e32 v29, v29, v30
	v_exp_f32_e32 v29, v29
	v_cvt_i32_f32_e32 v30, v31
	v_cmp_ngt_f32_e32 vcc, s13, v27
	v_cndmask_b32_e32 v28, 0, v28, vcc
	v_cmp_nlt_f32_e32 vcc, s7, v27
	v_pk_add_f32 v[24:25], v[24:25], 1.0 op_sel_hi:[1,0]
	v_cndmask_b32_e32 v27, v52, v28, vcc
	v_ldexp_f32 v28, v29, v30
	v_div_scale_f32 v29, s[0:1], v25, v25, 1.0
	v_mfma_f32_32x32x2f32 v[2:17], v98, v86, v[2:17]
	v_rcp_f32_e32 v30, v29
	v_cmp_ngt_f32_e32 vcc, s13, v26
	v_cndmask_b32_e32 v28, 0, v28, vcc
	v_cmp_nlt_f32_e32 vcc, s7, v26
	v_cndmask_b32_e32 v26, v52, v28, vcc
	v_fma_f32 v28, -v29, v30, 1.0
	v_fmac_f32_e32 v30, v28, v30
	v_div_scale_f32 v28, vcc, 1.0, v25, 1.0
	v_mul_f32_e32 v31, v28, v30
	v_fma_f32 v33, -v29, v31, v28
	v_fmac_f32_e32 v31, v33, v30
	v_fma_f32 v28, -v29, v31, v28
	v_div_scale_f32 v29, s[0:1], v24, v24, 1.0
	v_mfma_f32_32x32x2f32 v[2:17], v99, v87, v[2:17]
	v_rcp_f32_e32 v33, v29
	v_div_fmas_f32 v28, v28, v30, v31
	v_div_fixup_f32 v25, v28, v25, 1.0
	v_pk_add_f32 v[26:27], v[26:27], 1.0 op_sel_hi:[1,0]
	v_fma_f32 v28, -v29, v33, 1.0
	v_fmac_f32_e32 v33, v28, v33
	v_div_scale_f32 v28, vcc, 1.0, v24, 1.0
	v_mul_f32_e32 v30, v28, v33
	v_fma_f32 v31, -v29, v30, v28
	v_fmac_f32_e32 v30, v31, v33
	v_fma_f32 v28, -v29, v30, v28
	v_div_scale_f32 v29, s[0:1], v27, v27, 1.0
	v_rcp_f32_e32 v31, v29
	v_mfma_f32_32x32x2f32 v[2:17], v100, v88, v[2:17]
	v_div_fmas_f32 v28, v28, v33, v30
	v_div_fixup_f32 v24, v28, v24, 1.0
	v_fma_f32 v28, -v29, v31, 1.0
	v_fmac_f32_e32 v31, v28, v31
	v_div_scale_f32 v28, vcc, 1.0, v27, 1.0
	v_mul_f32_e32 v30, v28, v31
	v_fma_f32 v33, -v29, v30, v28
	v_fmac_f32_e32 v30, v33, v31
	v_fma_f32 v28, -v29, v30, v28
	v_div_scale_f32 v29, s[0:1], v26, v26, 1.0
	v_rcp_f32_e32 v33, v29
	v_div_fmas_f32 v28, v28, v31, v30
	v_div_fixup_f32 v27, v28, v27, 1.0
	v_mfma_f32_32x32x2f32 v[2:17], v101, v89, v[2:17]
	v_fma_f32 v28, -v29, v33, 1.0
	v_fmac_f32_e32 v33, v28, v33
	v_div_scale_f32 v28, vcc, 1.0, v26, 1.0
	v_mul_f32_e32 v30, v28, v33
	v_fma_f32 v31, -v29, v30, v28
	v_fmac_f32_e32 v30, v31, v33
	v_fma_f32 v28, -v29, v30, v28
	v_div_fmas_f32 v28, v28, v33, v30
	v_div_fixup_f32 v26, v28, v26, 1.0
	v_pk_mul_f32 v[22:23], v[22:23], v[24:25]
	v_pk_mul_f32 v[20:21], v[20:21], v[26:27]
	v_lshlrev_b32_e32 v24, 2, v32
	buffer_store_dwordx4 v[20:23], v24, s[16:19], 0 offen
	buffer_load_dwordx4 v[20:23], v1, s[8:11], 0 offen
	v_mfma_f32_32x32x2f32 v[2:17], v94, v78, v[2:17]
	v_add_lshl_u32 v1, v19, s26, 2
	buffer_load_dwordx4 v[24:27], v1, s[20:23], 0 offen
	s_waitcnt vmcnt(1) lgkmcnt(0)
	v_pk_add_f32 v[22:23], v[38:39], v[22:23]
	v_mfma_f32_32x32x2f32 v[2:17], v95, v79, v[2:17]
	v_pk_add_f32 v[20:21], v[36:37], v[20:21]
	s_waitcnt vmcnt(0)
	v_pk_add_f32 v[22:23], v[22:23], v[26:27]
	v_pk_add_f32 v[20:21], v[20:21], v[24:25]
	v_pk_mul_f32 v[24:25], v[22:23], s[6:7] op_sel_hi:[1,0]
	v_pk_fma_f32 v[24:25], v[22:23], v[24:25], s[12:13] op_sel_hi:[1,1,0] neg_lo:[1,0,0] neg_hi:[1,0,0]
	v_pk_mul_f32 v[24:25], v[22:23], v[24:25]
	v_mul_f32_e32 v1, 0x3fb8aa3b, v25
	v_fma_f32 v19, v25, s14, -v1
	v_rndne_f32_e32 v26, v1
	v_fmac_f32_e32 v19, 0x32a5705f, v25
	v_sub_f32_e32 v1, v1, v26
	v_add_f32_e32 v1, v1, v19
	v_exp_f32_e32 v1, v1
	v_cvt_i32_f32_e32 v19, v26
	v_pk_mul_f32 v[26:27], v[20:21], s[6:7] op_sel_hi:[1,0]
	v_mfma_f32_32x32x2f32 v[2:17], v96, v80, v[2:17]
	v_pk_fma_f32 v[26:27], v[20:21], v[26:27], s[12:13] op_sel_hi:[1,1,0] neg_lo:[1,0,0] neg_hi:[1,0,0]
	v_ldexp_f32 v1, v1, v19
	v_mul_f32_e32 v19, 0x3fb8aa3b, v24
	v_fma_f32 v28, v24, s14, -v19
	v_rndne_f32_e32 v29, v19
	v_fmac_f32_e32 v28, 0x32a5705f, v24
	v_sub_f32_e32 v19, v19, v29
	v_add_f32_e32 v19, v19, v28
	v_exp_f32_e32 v19, v19
	v_cvt_i32_f32_e32 v28, v29
	v_cmp_ngt_f32_e32 vcc, s13, v25
	v_pk_mul_f32 v[26:27], v[20:21], v[26:27]
	v_cndmask_b32_e32 v1, 0, v1, vcc
	v_cmp_nlt_f32_e32 vcc, s7, v25
	v_cndmask_b32_e32 v25, v52, v1, vcc
	v_mfma_f32_32x32x2f32 v[2:17], v97, v81, v[2:17]
	v_ldexp_f32 v1, v19, v28
	v_mul_f32_e32 v19, 0x3fb8aa3b, v27
	v_fma_f32 v28, v27, s14, -v19
	v_rndne_f32_e32 v29, v19
	v_fmac_f32_e32 v28, 0x32a5705f, v27
	v_sub_f32_e32 v19, v19, v29
	v_add_f32_e32 v19, v19, v28
	v_exp_f32_e32 v19, v19
	v_cvt_i32_f32_e32 v28, v29
	v_cmp_ngt_f32_e32 vcc, s13, v24
	v_cndmask_b32_e32 v1, 0, v1, vcc
	v_cmp_nlt_f32_e32 vcc, s7, v24
	v_cndmask_b32_e32 v24, v52, v1, vcc
	v_ldexp_f32 v1, v19, v28
	v_mul_f32_e32 v19, 0x3fb8aa3b, v26
	v_mfma_f32_32x32x2f32 v[2:17], v82, v70, v[2:17]
	v_fma_f32 v28, v26, s14, -v19
	v_rndne_f32_e32 v29, v19
	v_fmac_f32_e32 v28, 0x32a5705f, v26
	v_sub_f32_e32 v19, v19, v29
	v_add_f32_e32 v19, v19, v28
	v_exp_f32_e32 v19, v19
	v_cvt_i32_f32_e32 v28, v29
	v_cmp_ngt_f32_e32 vcc, s13, v27
	v_cndmask_b32_e32 v1, 0, v1, vcc
	v_cmp_nlt_f32_e32 vcc, s7, v27
	v_pk_add_f32 v[24:25], v[24:25], 1.0 op_sel_hi:[1,0]
	v_cndmask_b32_e32 v27, v52, v1, vcc
	v_ldexp_f32 v1, v19, v28
	v_div_scale_f32 v19, s[0:1], v25, v25, 1.0
	v_mfma_f32_32x32x2f32 v[2:17], v83, v71, v[2:17]
	v_rcp_f32_e32 v28, v19
	v_cmp_ngt_f32_e32 vcc, s13, v26
	v_cndmask_b32_e32 v1, 0, v1, vcc
	v_cmp_nlt_f32_e32 vcc, s7, v26
	v_cndmask_b32_e32 v26, v52, v1, vcc
	v_fma_f32 v1, -v19, v28, 1.0
	v_fmac_f32_e32 v28, v1, v28
	v_div_scale_f32 v1, vcc, 1.0, v25, 1.0
	v_mul_f32_e32 v29, v1, v28
	v_fma_f32 v30, -v19, v29, v1
	v_fmac_f32_e32 v29, v30, v28
	v_fma_f32 v1, -v19, v29, v1
	v_div_scale_f32 v19, s[0:1], v24, v24, 1.0
	v_mfma_f32_32x32x2f32 v[2:17], v84, v72, v[2:17]
	v_rcp_f32_e32 v30, v19
	v_div_fmas_f32 v1, v1, v28, v29
	v_div_fixup_f32 v25, v1, v25, 1.0
	v_pk_add_f32 v[26:27], v[26:27], 1.0 op_sel_hi:[1,0]
	v_fma_f32 v1, -v19, v30, 1.0
	v_fmac_f32_e32 v30, v1, v30
	v_div_scale_f32 v1, vcc, 1.0, v24, 1.0
	v_mul_f32_e32 v28, v1, v30
	v_fma_f32 v29, -v19, v28, v1
	v_fmac_f32_e32 v28, v29, v30
	v_fma_f32 v1, -v19, v28, v1
	v_div_scale_f32 v19, s[0:1], v27, v27, 1.0
	v_rcp_f32_e32 v29, v19
	v_mfma_f32_32x32x2f32 v[2:17], v85, v73, v[2:17]
	v_div_fmas_f32 v1, v1, v30, v28
	v_div_fixup_f32 v24, v1, v24, 1.0
	v_fma_f32 v1, -v19, v29, 1.0
	v_fmac_f32_e32 v29, v1, v29
	v_div_scale_f32 v1, vcc, 1.0, v27, 1.0
	v_mul_f32_e32 v28, v1, v29
	v_fma_f32 v30, -v19, v28, v1
	v_fmac_f32_e32 v28, v30, v29
	v_fma_f32 v1, -v19, v28, v1
	v_div_scale_f32 v19, s[0:1], v26, v26, 1.0
	v_rcp_f32_e32 v30, v19
	v_div_fmas_f32 v1, v1, v29, v28
	v_div_fixup_f32 v27, v1, v27, 1.0
	v_mfma_f32_32x32x2f32 v[2:17], v74, v66, v[2:17]
	v_fma_f32 v1, -v19, v30, 1.0
	v_fmac_f32_e32 v30, v1, v30
	v_div_scale_f32 v1, vcc, 1.0, v26, 1.0
	v_mul_f32_e32 v28, v1, v30
	v_fma_f32 v29, -v19, v28, v1
	v_fmac_f32_e32 v28, v29, v30
	v_fma_f32 v1, -v19, v28, v1
	v_div_fmas_f32 v1, v1, v30, v28
	v_div_fixup_f32 v26, v1, v26, 1.0
	v_pk_mul_f32 v[22:23], v[22:23], v[24:25]
	v_pk_mul_f32 v[20:21], v[20:21], v[26:27]
	v_add_lshl_u32 v1, v32, s25, 2
	v_subrev_u32_e32 v19, 32, v0
	buffer_store_dwordx4 v[20:23], v1, s[16:19], 0 offen
	v_mfma_f32_32x32x2f32 v[2:17], v75, v67, v[2:17]
	v_subrev_u32_e32 v20, 32, v34
	v_lshlrev_b32_e32 v0, 2, v19
	s_waitcnt lgkmcnt(0)
	; wave barrier
	v_mfma_f32_32x32x2f32 v[2:17], v76, v68, v[2:17]
	v_mfma_f32_32x32x2f32 v[2:17], v77, v69, v[2:17]
	s_nop 7
	s_nop 7
	;; [unrolled: 1-line block ×3, first 2 shown]
	ds_write2_b32 v191, v2, v3 offset1:32
	ds_write2_b32 v191, v4, v5 offset0:64 offset1:96
	ds_write2_b32 v194, v8, v9 offset0:64 offset1:96
	ds_write2_b32 v194, v6, v7 offset1:32
	ds_write2_b32 v54, v10, v11 offset1:32
	ds_write2_b32 v54, v12, v13 offset0:64 offset1:96
	ds_write2_b32 v55, v16, v17 offset0:64 offset1:96
	ds_write2_b32 v55, v14, v15 offset1:32
	s_waitcnt lgkmcnt(0)
	; wave barrier
	buffer_load_dwordx4 v[4:7], v0, s[8:11], 0 offen
	v_lshlrev_b32_e32 v0, 2, v20
	buffer_load_dwordx4 v[8:11], v0, s[20:23], 0 offen
	ds_read_b128 v[12:15], v53
	ds_read_b128 v[0:3], v53 offset:128
	v_subrev_u32_e32 v16, 32, v18
	s_waitcnt vmcnt(1) lgkmcnt(1)
	v_pk_add_f32 v[6:7], v[14:15], v[6:7]
	v_pk_add_f32 v[4:5], v[12:13], v[4:5]
	s_waitcnt vmcnt(0)
	v_pk_add_f32 v[6:7], v[6:7], v[10:11]
	v_pk_add_f32 v[4:5], v[4:5], v[8:9]
	v_pk_mul_f32 v[8:9], v[6:7], s[6:7] op_sel_hi:[1,0]
	v_pk_fma_f32 v[8:9], v[6:7], v[8:9], s[12:13] op_sel_hi:[1,1,0] neg_lo:[1,0,0] neg_hi:[1,0,0]
	v_pk_mul_f32 v[8:9], v[6:7], v[8:9]
	v_mul_f32_e32 v10, 0x3fb8aa3b, v9
	v_fma_f32 v11, v9, s14, -v10
	v_rndne_f32_e32 v12, v10
	v_fmac_f32_e32 v11, 0x32a5705f, v9
	v_sub_f32_e32 v10, v10, v12
	v_add_f32_e32 v10, v10, v11
	v_exp_f32_e32 v13, v10
	v_cvt_i32_f32_e32 v12, v12
	v_pk_mul_f32 v[10:11], v[4:5], s[6:7] op_sel_hi:[1,0]
	v_pk_fma_f32 v[10:11], v[4:5], v[10:11], s[12:13] op_sel_hi:[1,1,0] neg_lo:[1,0,0] neg_hi:[1,0,0]
	v_cmp_ngt_f32_e32 vcc, s13, v9
	v_ldexp_f32 v12, v13, v12
	v_mul_f32_e32 v13, 0x3fb8aa3b, v8
	v_fma_f32 v14, v8, s14, -v13
	v_rndne_f32_e32 v15, v13
	v_fmac_f32_e32 v14, 0x32a5705f, v8
	v_sub_f32_e32 v13, v13, v15
	v_add_f32_e32 v13, v13, v14
	v_exp_f32_e32 v13, v13
	v_cvt_i32_f32_e32 v14, v15
	v_pk_mul_f32 v[10:11], v[4:5], v[10:11]
	v_cndmask_b32_e32 v12, 0, v12, vcc
	v_cmp_nlt_f32_e32 vcc, s7, v9
	v_cndmask_b32_e32 v9, v52, v12, vcc
	v_ldexp_f32 v12, v13, v14
	v_mul_f32_e32 v13, 0x3fb8aa3b, v11
	v_fma_f32 v14, v11, s14, -v13
	v_rndne_f32_e32 v15, v13
	v_fmac_f32_e32 v14, 0x32a5705f, v11
	v_sub_f32_e32 v13, v13, v15
	v_add_f32_e32 v13, v13, v14
	v_exp_f32_e32 v13, v13
	v_cvt_i32_f32_e32 v14, v15
	v_cmp_ngt_f32_e32 vcc, s13, v8
	v_cndmask_b32_e32 v12, 0, v12, vcc
	v_cmp_nlt_f32_e32 vcc, s7, v8
	v_cndmask_b32_e32 v8, v52, v12, vcc
	v_ldexp_f32 v12, v13, v14
	v_mul_f32_e32 v13, 0x3fb8aa3b, v10
	v_fma_f32 v14, v10, s14, -v13
	v_rndne_f32_e32 v15, v13
	v_fmac_f32_e32 v14, 0x32a5705f, v10
	v_sub_f32_e32 v13, v13, v15
	v_add_f32_e32 v13, v13, v14
	v_exp_f32_e32 v13, v13
	v_cvt_i32_f32_e32 v14, v15
	v_cmp_ngt_f32_e32 vcc, s13, v11
	v_cndmask_b32_e32 v12, 0, v12, vcc
	v_cmp_nlt_f32_e32 vcc, s7, v11
	v_pk_add_f32 v[8:9], v[8:9], 1.0 op_sel_hi:[1,0]
	v_cndmask_b32_e32 v11, v52, v12, vcc
	v_ldexp_f32 v12, v13, v14
	v_div_scale_f32 v13, s[0:1], v9, v9, 1.0
	v_rcp_f32_e32 v14, v13
	v_cmp_ngt_f32_e32 vcc, s13, v10
	v_cndmask_b32_e32 v12, 0, v12, vcc
	v_cmp_nlt_f32_e32 vcc, s7, v10
	v_cndmask_b32_e32 v10, v52, v12, vcc
	v_fma_f32 v12, -v13, v14, 1.0
	v_fmac_f32_e32 v14, v12, v14
	v_div_scale_f32 v12, vcc, 1.0, v9, 1.0
	v_mul_f32_e32 v15, v12, v14
	v_fma_f32 v17, -v13, v15, v12
	v_fmac_f32_e32 v15, v17, v14
	v_fma_f32 v12, -v13, v15, v12
	v_div_scale_f32 v13, s[0:1], v8, v8, 1.0
	v_rcp_f32_e32 v17, v13
	v_div_fmas_f32 v12, v12, v14, v15
	v_div_fixup_f32 v9, v12, v9, 1.0
	v_pk_add_f32 v[10:11], v[10:11], 1.0 op_sel_hi:[1,0]
	v_fma_f32 v12, -v13, v17, 1.0
	v_fmac_f32_e32 v17, v12, v17
	v_div_scale_f32 v12, vcc, 1.0, v8, 1.0
	v_mul_f32_e32 v14, v12, v17
	v_fma_f32 v15, -v13, v14, v12
	v_fmac_f32_e32 v14, v15, v17
	v_fma_f32 v12, -v13, v14, v12
	v_div_scale_f32 v13, s[0:1], v11, v11, 1.0
	v_rcp_f32_e32 v15, v13
	v_div_fmas_f32 v12, v12, v17, v14
	v_div_fixup_f32 v8, v12, v8, 1.0
	v_pk_mul_f32 v[6:7], v[6:7], v[8:9]
	v_fma_f32 v12, -v13, v15, 1.0
	v_fmac_f32_e32 v15, v12, v15
	v_div_scale_f32 v12, vcc, 1.0, v11, 1.0
	v_mul_f32_e32 v14, v12, v15
	v_fma_f32 v17, -v13, v14, v12
	v_fmac_f32_e32 v14, v17, v15
	v_fma_f32 v12, -v13, v14, v12
	v_div_scale_f32 v13, s[0:1], v10, v10, 1.0
	v_rcp_f32_e32 v17, v13
	v_div_fmas_f32 v12, v12, v15, v14
	v_div_fixup_f32 v11, v12, v11, 1.0
	v_lshlrev_b32_e32 v8, 2, v16
	v_fma_f32 v12, -v13, v17, 1.0
	v_fmac_f32_e32 v17, v12, v17
	v_div_scale_f32 v12, vcc, 1.0, v10, 1.0
	v_mul_f32_e32 v14, v12, v17
	v_fma_f32 v15, -v13, v14, v12
	v_fmac_f32_e32 v14, v15, v17
	v_fma_f32 v12, -v13, v14, v12
	v_div_fmas_f32 v12, v12, v17, v14
	v_div_fixup_f32 v10, v12, v10, 1.0
	v_pk_mul_f32 v[4:5], v[4:5], v[10:11]
	v_add_u32_e32 v12, s27, v19
	buffer_store_dwordx4 v[4:7], v8, s[16:19], 0 offen
	v_add_u32_e32 v13, s26, v20
	v_lshlrev_b32_e32 v4, 2, v12
	buffer_load_dwordx4 v[4:7], v4, s[8:11], 0 offen
	v_lshlrev_b32_e32 v8, 2, v13
	buffer_load_dwordx4 v[8:11], v8, s[20:23], 0 offen
	v_add_u32_e32 v14, s25, v16
	v_lshlrev_b32_e32 v15, 2, v14
	v_add_u32_e32 v12, s27, v12
	v_add_u32_e32 v16, s26, v13
	v_lshlrev_b32_e32 v13, 2, v12
	s_waitcnt vmcnt(1) lgkmcnt(0)
	v_pk_add_f32 v[2:3], v[2:3], v[6:7]
	v_pk_add_f32 v[0:1], v[0:1], v[4:5]
	s_waitcnt vmcnt(0)
	v_pk_add_f32 v[2:3], v[2:3], v[10:11]
	v_pk_mul_f32 v[4:5], v[2:3], s[6:7] op_sel_hi:[1,0]
	v_pk_add_f32 v[0:1], v[0:1], v[8:9]
	v_pk_fma_f32 v[4:5], v[2:3], v[4:5], s[12:13] op_sel_hi:[1,1,0] neg_lo:[1,0,0] neg_hi:[1,0,0]
	v_pk_mul_f32 v[6:7], v[0:1], s[6:7] op_sel_hi:[1,0]
	v_pk_mul_f32 v[4:5], v[2:3], v[4:5]
	v_pk_fma_f32 v[6:7], v[0:1], v[6:7], s[12:13] op_sel_hi:[1,1,0] neg_lo:[1,0,0] neg_hi:[1,0,0]
	v_mul_f32_e32 v8, 0x3fb8aa3b, v5
	v_pk_mul_f32 v[6:7], v[0:1], v[6:7]
	v_mul_f32_e32 v9, 0x3fb8aa3b, v4
	v_fma_f32 v17, v5, s14, -v8
	v_rndne_f32_e32 v18, v8
	v_mul_f32_e32 v10, 0x3fb8aa3b, v7
	v_fma_f32 v19, v4, s14, -v9
	v_rndne_f32_e32 v20, v9
	v_fmac_f32_e32 v17, 0x32a5705f, v5
	v_sub_f32_e32 v8, v8, v18
	v_mul_f32_e32 v11, 0x3fb8aa3b, v6
	v_fma_f32 v21, v7, s14, -v10
	v_rndne_f32_e32 v22, v10
	v_fmac_f32_e32 v19, 0x32a5705f, v4
	v_sub_f32_e32 v9, v9, v20
	v_add_f32_e32 v8, v8, v17
	v_fma_f32 v23, v6, s14, -v11
	v_rndne_f32_e32 v24, v11
	v_cvt_i32_f32_e32 v18, v18
	v_fmac_f32_e32 v21, 0x32a5705f, v7
	v_sub_f32_e32 v10, v10, v22
	v_add_f32_e32 v9, v9, v19
	v_exp_f32_e32 v8, v8
	v_cvt_i32_f32_e32 v20, v20
	v_fmac_f32_e32 v23, 0x32a5705f, v6
	v_sub_f32_e32 v11, v11, v24
	v_add_f32_e32 v10, v10, v21
	v_exp_f32_e32 v9, v9
	v_cvt_i32_f32_e32 v22, v22
	v_add_f32_e32 v11, v11, v23
	v_exp_f32_e32 v10, v10
	v_cvt_i32_f32_e32 v24, v24
	v_exp_f32_e32 v11, v11
	v_ldexp_f32 v8, v8, v18
	v_cmp_ngt_f32_e32 vcc, s13, v5
	v_ldexp_f32 v9, v9, v20
	v_cndmask_b32_e32 v8, 0, v8, vcc
	v_cmp_ngt_f32_e32 vcc, s13, v4
	v_ldexp_f32 v10, v10, v22
	v_cndmask_b32_e32 v9, 0, v9, vcc
	;; [unrolled: 3-line block ×3, first 2 shown]
	v_cmp_ngt_f32_e32 vcc, s13, v6
	v_cndmask_b32_e32 v11, 0, v11, vcc
	v_cmp_nlt_f32_e32 vcc, s7, v5
	v_cndmask_b32_e32 v5, v52, v8, vcc
	v_cmp_nlt_f32_e32 vcc, s7, v4
	;; [unrolled: 2-line block ×4, first 2 shown]
	v_pk_add_f32 v[4:5], v[4:5], 1.0 op_sel_hi:[1,0]
	v_cndmask_b32_e32 v6, v52, v11, vcc
	v_div_scale_f32 v8, s[0:1], v5, v5, 1.0
	v_pk_add_f32 v[6:7], v[6:7], 1.0 op_sel_hi:[1,0]
	v_div_scale_f32 v10, s[0:1], v4, v4, 1.0
	v_rcp_f32_e32 v21, v8
	v_div_scale_f32 v17, s[2:3], v7, v7, 1.0
	v_rcp_f32_e32 v22, v10
	;; [unrolled: 2-line block ×3, first 2 shown]
	v_rcp_f32_e32 v24, v19
	v_fma_f32 v25, -v8, v21, 1.0
	v_div_scale_f32 v9, vcc, 1.0, v5, 1.0
	v_fma_f32 v26, -v10, v22, 1.0
	v_fmac_f32_e32 v21, v25, v21
	v_div_scale_f32 v11, s[0:1], 1.0, v4, 1.0
	v_fma_f32 v27, -v17, v23, 1.0
	v_fmac_f32_e32 v22, v26, v22
	v_mul_f32_e32 v25, v9, v21
	v_div_scale_f32 v18, s[2:3], 1.0, v7, 1.0
	v_fma_f32 v28, -v19, v24, 1.0
	v_fmac_f32_e32 v23, v27, v23
	v_mul_f32_e32 v26, v11, v22
	v_fma_f32 v29, -v8, v25, v9
	v_div_scale_f32 v20, s[4:5], 1.0, v6, 1.0
	v_fmac_f32_e32 v24, v28, v24
	v_mul_f32_e32 v27, v18, v23
	v_fma_f32 v30, -v10, v26, v11
	v_fmac_f32_e32 v25, v29, v21
	v_mul_f32_e32 v28, v20, v24
	v_fma_f32 v31, -v17, v27, v18
	v_fmac_f32_e32 v26, v30, v22
	v_fma_f32 v8, -v8, v25, v9
	v_fma_f32 v32, -v19, v28, v20
	v_fmac_f32_e32 v27, v31, v23
	v_fma_f32 v9, -v10, v26, v11
	v_div_fmas_f32 v8, v8, v21, v25
	s_mov_b64 vcc, s[0:1]
	v_fmac_f32_e32 v28, v32, v24
	v_fma_f32 v10, -v17, v27, v18
	v_div_fixup_f32 v5, v8, v5, 1.0
	v_div_fmas_f32 v8, v9, v22, v26
	s_mov_b64 vcc, s[2:3]
	v_fma_f32 v11, -v19, v28, v20
	v_div_fixup_f32 v4, v8, v4, 1.0
	v_div_fmas_f32 v8, v10, v23, v27
	s_mov_b64 vcc, s[4:5]
	v_div_fixup_f32 v7, v8, v7, 1.0
	v_div_fmas_f32 v8, v11, v24, v28
	v_div_fixup_f32 v6, v8, v6, 1.0
	v_pk_mul_f32 v[2:3], v[2:3], v[4:5]
	v_pk_mul_f32 v[0:1], v[0:1], v[6:7]
	buffer_store_dwordx4 v[0:3], v15, s[16:19], 0 offen
	buffer_load_dwordx4 v[0:3], v13, s[8:11], 0 offen
	v_lshlrev_b32_e32 v4, 2, v16
	buffer_load_dwordx4 v[4:7], v4, s[20:23], 0 offen
	ds_read_b128 v[8:11], v53 offset:256
	v_add_u32_e32 v17, s25, v14
	v_add_lshl_u32 v19, v12, s27, 2
	ds_read_b128 v[12:15], v53 offset:384
	v_lshlrev_b32_e32 v18, 2, v17
	s_waitcnt vmcnt(1) lgkmcnt(1)
	v_pk_add_f32 v[2:3], v[10:11], v[2:3]
	v_pk_add_f32 v[0:1], v[8:9], v[0:1]
	s_waitcnt vmcnt(0)
	v_pk_add_f32 v[2:3], v[2:3], v[6:7]
	v_pk_add_f32 v[0:1], v[0:1], v[4:5]
	v_pk_mul_f32 v[4:5], v[2:3], s[6:7] op_sel_hi:[1,0]
	v_pk_fma_f32 v[4:5], v[2:3], v[4:5], s[12:13] op_sel_hi:[1,1,0] neg_lo:[1,0,0] neg_hi:[1,0,0]
	v_pk_mul_f32 v[6:7], v[0:1], s[6:7] op_sel_hi:[1,0]
	v_pk_mul_f32 v[4:5], v[2:3], v[4:5]
	v_pk_fma_f32 v[6:7], v[0:1], v[6:7], s[12:13] op_sel_hi:[1,1,0] neg_lo:[1,0,0] neg_hi:[1,0,0]
	v_mul_f32_e32 v8, 0x3fb8aa3b, v5
	v_pk_mul_f32 v[6:7], v[0:1], v[6:7]
	v_mul_f32_e32 v9, 0x3fb8aa3b, v4
	v_fma_f32 v20, v5, s14, -v8
	v_rndne_f32_e32 v21, v8
	v_mul_f32_e32 v10, 0x3fb8aa3b, v7
	v_fma_f32 v22, v4, s14, -v9
	v_rndne_f32_e32 v23, v9
	v_fmac_f32_e32 v20, 0x32a5705f, v5
	v_sub_f32_e32 v8, v8, v21
	v_mul_f32_e32 v11, 0x3fb8aa3b, v6
	v_fma_f32 v24, v7, s14, -v10
	v_rndne_f32_e32 v25, v10
	v_fmac_f32_e32 v22, 0x32a5705f, v4
	v_sub_f32_e32 v9, v9, v23
	v_add_f32_e32 v8, v8, v20
	v_fma_f32 v26, v6, s14, -v11
	v_rndne_f32_e32 v27, v11
	v_cvt_i32_f32_e32 v21, v21
	v_fmac_f32_e32 v24, 0x32a5705f, v7
	v_sub_f32_e32 v10, v10, v25
	v_add_f32_e32 v9, v9, v22
	v_exp_f32_e32 v8, v8
	v_cvt_i32_f32_e32 v23, v23
	v_fmac_f32_e32 v26, 0x32a5705f, v6
	v_sub_f32_e32 v11, v11, v27
	v_add_f32_e32 v10, v10, v24
	v_exp_f32_e32 v9, v9
	v_cvt_i32_f32_e32 v25, v25
	v_add_f32_e32 v11, v11, v26
	v_exp_f32_e32 v10, v10
	v_cvt_i32_f32_e32 v27, v27
	v_exp_f32_e32 v11, v11
	v_ldexp_f32 v8, v8, v21
	v_cmp_ngt_f32_e32 vcc, s13, v5
	v_ldexp_f32 v9, v9, v23
	v_cndmask_b32_e32 v8, 0, v8, vcc
	v_cmp_ngt_f32_e32 vcc, s13, v4
	v_ldexp_f32 v10, v10, v25
	v_cndmask_b32_e32 v9, 0, v9, vcc
	;; [unrolled: 3-line block ×3, first 2 shown]
	v_cmp_ngt_f32_e32 vcc, s13, v6
	v_cndmask_b32_e32 v11, 0, v11, vcc
	v_cmp_nlt_f32_e32 vcc, s7, v5
	v_cndmask_b32_e32 v5, v52, v8, vcc
	v_cmp_nlt_f32_e32 vcc, s7, v4
	;; [unrolled: 2-line block ×4, first 2 shown]
	v_pk_add_f32 v[4:5], v[4:5], 1.0 op_sel_hi:[1,0]
	v_cndmask_b32_e32 v6, v52, v11, vcc
	v_div_scale_f32 v8, s[0:1], v5, v5, 1.0
	v_pk_add_f32 v[6:7], v[6:7], 1.0 op_sel_hi:[1,0]
	v_div_scale_f32 v10, s[0:1], v4, v4, 1.0
	v_rcp_f32_e32 v24, v8
	v_div_scale_f32 v20, s[2:3], v7, v7, 1.0
	v_rcp_f32_e32 v25, v10
	;; [unrolled: 2-line block ×3, first 2 shown]
	v_rcp_f32_e32 v27, v22
	v_fma_f32 v28, -v8, v24, 1.0
	v_div_scale_f32 v9, vcc, 1.0, v5, 1.0
	v_fma_f32 v29, -v10, v25, 1.0
	v_fmac_f32_e32 v24, v28, v24
	v_div_scale_f32 v11, s[0:1], 1.0, v4, 1.0
	v_fma_f32 v30, -v20, v26, 1.0
	v_fmac_f32_e32 v25, v29, v25
	v_mul_f32_e32 v28, v9, v24
	v_div_scale_f32 v21, s[2:3], 1.0, v7, 1.0
	v_fma_f32 v31, -v22, v27, 1.0
	v_fmac_f32_e32 v26, v30, v26
	v_mul_f32_e32 v29, v11, v25
	v_fma_f32 v32, -v8, v28, v9
	v_div_scale_f32 v23, s[4:5], 1.0, v6, 1.0
	v_fmac_f32_e32 v27, v31, v27
	v_mul_f32_e32 v30, v21, v26
	v_fma_f32 v33, -v10, v29, v11
	v_fmac_f32_e32 v28, v32, v24
	v_mul_f32_e32 v31, v23, v27
	v_fma_f32 v34, -v20, v30, v21
	v_fmac_f32_e32 v29, v33, v25
	v_fma_f32 v8, -v8, v28, v9
	v_fma_f32 v35, -v22, v31, v23
	v_fmac_f32_e32 v30, v34, v26
	v_fma_f32 v9, -v10, v29, v11
	v_div_fmas_f32 v8, v8, v24, v28
	s_mov_b64 vcc, s[0:1]
	v_fmac_f32_e32 v31, v35, v27
	v_fma_f32 v10, -v20, v30, v21
	v_div_fixup_f32 v5, v8, v5, 1.0
	v_div_fmas_f32 v8, v9, v25, v29
	s_mov_b64 vcc, s[2:3]
	v_fma_f32 v11, -v22, v31, v23
	v_div_fixup_f32 v4, v8, v4, 1.0
	v_div_fmas_f32 v8, v10, v26, v30
	s_mov_b64 vcc, s[4:5]
	v_div_fixup_f32 v7, v8, v7, 1.0
	v_div_fmas_f32 v8, v11, v27, v31
	v_div_fixup_f32 v6, v8, v6, 1.0
	v_pk_mul_f32 v[2:3], v[2:3], v[4:5]
	v_pk_mul_f32 v[0:1], v[0:1], v[6:7]
	buffer_store_dwordx4 v[0:3], v18, s[16:19], 0 offen
	buffer_load_dwordx4 v[0:3], v19, s[8:11], 0 offen
	v_add_lshl_u32 v4, v16, s26, 2
	buffer_load_dwordx4 v[4:7], v4, s[20:23], 0 offen
	s_waitcnt vmcnt(1) lgkmcnt(0)
	v_pk_add_f32 v[2:3], v[14:15], v[2:3]
	v_pk_add_f32 v[0:1], v[12:13], v[0:1]
	s_waitcnt vmcnt(0)
	v_pk_add_f32 v[2:3], v[2:3], v[6:7]
	v_pk_add_f32 v[0:1], v[0:1], v[4:5]
	v_pk_mul_f32 v[4:5], v[2:3], s[6:7] op_sel_hi:[1,0]
	v_pk_fma_f32 v[4:5], v[2:3], v[4:5], s[12:13] op_sel_hi:[1,1,0] neg_lo:[1,0,0] neg_hi:[1,0,0]
	v_pk_mul_f32 v[6:7], v[0:1], s[6:7] op_sel_hi:[1,0]
	v_pk_mul_f32 v[4:5], v[2:3], v[4:5]
	v_pk_fma_f32 v[6:7], v[0:1], v[6:7], s[12:13] op_sel_hi:[1,1,0] neg_lo:[1,0,0] neg_hi:[1,0,0]
	v_mul_f32_e32 v8, 0x3fb8aa3b, v5
	v_pk_mul_f32 v[6:7], v[0:1], v[6:7]
	v_mul_f32_e32 v9, 0x3fb8aa3b, v4
	v_fma_f32 v12, v5, s14, -v8
	v_rndne_f32_e32 v13, v8
	v_mul_f32_e32 v10, 0x3fb8aa3b, v7
	v_fma_f32 v14, v4, s14, -v9
	v_rndne_f32_e32 v15, v9
	v_fmac_f32_e32 v12, 0x32a5705f, v5
	v_sub_f32_e32 v8, v8, v13
	v_mul_f32_e32 v11, 0x3fb8aa3b, v6
	v_fma_f32 v16, v7, s14, -v10
	v_rndne_f32_e32 v18, v10
	v_fmac_f32_e32 v14, 0x32a5705f, v4
	v_sub_f32_e32 v9, v9, v15
	v_add_f32_e32 v8, v8, v12
	v_fma_f32 v19, v6, s14, -v11
	v_rndne_f32_e32 v20, v11
	v_cvt_i32_f32_e32 v13, v13
	v_fmac_f32_e32 v16, 0x32a5705f, v7
	v_sub_f32_e32 v10, v10, v18
	v_add_f32_e32 v9, v9, v14
	v_exp_f32_e32 v8, v8
	v_cvt_i32_f32_e32 v15, v15
	v_fmac_f32_e32 v19, 0x32a5705f, v6
	v_sub_f32_e32 v11, v11, v20
	v_add_f32_e32 v10, v10, v16
	v_exp_f32_e32 v9, v9
	v_cvt_i32_f32_e32 v18, v18
	v_add_f32_e32 v11, v11, v19
	v_exp_f32_e32 v10, v10
	v_cvt_i32_f32_e32 v20, v20
	v_exp_f32_e32 v11, v11
	v_ldexp_f32 v8, v8, v13
	v_cmp_ngt_f32_e32 vcc, s13, v5
	v_ldexp_f32 v9, v9, v15
	v_cndmask_b32_e32 v8, 0, v8, vcc
	v_cmp_ngt_f32_e32 vcc, s13, v4
	v_ldexp_f32 v10, v10, v18
	v_cndmask_b32_e32 v9, 0, v9, vcc
	;; [unrolled: 3-line block ×3, first 2 shown]
	v_cmp_ngt_f32_e32 vcc, s13, v6
	v_cndmask_b32_e32 v11, 0, v11, vcc
	v_cmp_nlt_f32_e32 vcc, s7, v5
	v_cndmask_b32_e32 v5, v52, v8, vcc
	v_cmp_nlt_f32_e32 vcc, s7, v4
	v_cndmask_b32_e32 v4, v52, v9, vcc
	v_cmp_nlt_f32_e32 vcc, s7, v7
	v_cndmask_b32_e32 v7, v52, v10, vcc
	v_cmp_nlt_f32_e32 vcc, s7, v6
	v_pk_add_f32 v[4:5], v[4:5], 1.0 op_sel_hi:[1,0]
	v_cndmask_b32_e32 v6, v52, v11, vcc
	v_div_scale_f32 v8, s[0:1], v5, v5, 1.0
	v_pk_add_f32 v[6:7], v[6:7], 1.0 op_sel_hi:[1,0]
	v_div_scale_f32 v10, s[0:1], v4, v4, 1.0
	v_rcp_f32_e32 v16, v8
	v_div_scale_f32 v12, s[2:3], v7, v7, 1.0
	v_rcp_f32_e32 v18, v10
	v_div_scale_f32 v14, s[4:5], v6, v6, 1.0
	v_rcp_f32_e32 v19, v12
	v_rcp_f32_e32 v20, v14
	v_fma_f32 v21, -v8, v16, 1.0
	v_div_scale_f32 v9, vcc, 1.0, v5, 1.0
	v_fma_f32 v22, -v10, v18, 1.0
	v_fmac_f32_e32 v16, v21, v16
	v_div_scale_f32 v11, s[0:1], 1.0, v4, 1.0
	v_fma_f32 v23, -v12, v19, 1.0
	v_fmac_f32_e32 v18, v22, v18
	v_mul_f32_e32 v21, v9, v16
	v_div_scale_f32 v13, s[2:3], 1.0, v7, 1.0
	v_fma_f32 v24, -v14, v20, 1.0
	v_fmac_f32_e32 v19, v23, v19
	v_mul_f32_e32 v22, v11, v18
	v_fma_f32 v25, -v8, v21, v9
	v_div_scale_f32 v15, s[4:5], 1.0, v6, 1.0
	v_fmac_f32_e32 v20, v24, v20
	v_mul_f32_e32 v23, v13, v19
	v_fma_f32 v26, -v10, v22, v11
	v_fmac_f32_e32 v21, v25, v16
	v_mul_f32_e32 v24, v15, v20
	v_fma_f32 v27, -v12, v23, v13
	v_fmac_f32_e32 v22, v26, v18
	v_fma_f32 v8, -v8, v21, v9
	v_fma_f32 v28, -v14, v24, v15
	v_fmac_f32_e32 v23, v27, v19
	v_fma_f32 v9, -v10, v22, v11
	v_div_fmas_f32 v8, v8, v16, v21
	s_mov_b64 vcc, s[0:1]
	v_fmac_f32_e32 v24, v28, v20
	v_fma_f32 v10, -v12, v23, v13
	v_div_fixup_f32 v5, v8, v5, 1.0
	v_div_fmas_f32 v8, v9, v18, v22
	s_mov_b64 vcc, s[2:3]
	v_fma_f32 v11, -v14, v24, v15
	v_div_fixup_f32 v4, v8, v4, 1.0
	v_div_fmas_f32 v8, v10, v19, v23
	s_mov_b64 vcc, s[4:5]
	v_div_fixup_f32 v7, v8, v7, 1.0
	v_div_fmas_f32 v8, v11, v20, v24
	v_div_fixup_f32 v6, v8, v6, 1.0
	v_pk_mul_f32 v[2:3], v[2:3], v[4:5]
	v_pk_mul_f32 v[0:1], v[0:1], v[6:7]
	v_add_lshl_u32 v4, v17, s25, 2
	buffer_store_dwordx4 v[0:3], v4, s[16:19], 0 offen
	s_endpgm
	.section	.rodata,"a",@progbits
	.p2align	6, 0x0
	.amdhsa_kernel _ZN2ck51kernel_gemm_multiple_d_xdl_cshuffle_lds_direct_loadINS_48GridwiseGemmMultipleD_Xdl_CShuffle_LdsDirectLoadINS_13tensor_layout4gemm8RowMajorENS3_11ColumnMajorENS_5TupleIJS4_S4_EEES4_fffffNS6_IJffEEEfNS_16tensor_operation12element_wise11PassThroughESB_NSA_14AddAddFastGeluELNS_25InMemoryDataOperationEnumE0ELNS9_6device18GemmSpecializationE0ELi1ELi64ELi64ELi64ELi64ELi8ELi8ELi32ELi32ELi2ELi2ENS_8SequenceIJLi8ELi1ELi8EEEENSG_IJLi1ELi0ELi2EEEELi2ELi1ELi0ESH_SI_Li2ELi1ELi0ELi1ELi1ENSG_IJLi1ELi8ELi1ELi8EEEELi4ELNS_13LoopSchedulerE0ELNS_15PipelineVersionE2EfEEffNS6_IJPKfSO_EEEfSB_SB_SC_NS_16TensorDescriptorINS6_IJNS_5EmbedINS6_IJiiEEENS6_IJiNS_17integral_constantIiLi1EEEEEELb0EEENS_11PassThroughIiEESY_NS_7UnMergeINS6_IJiNST_IiLi8EEEEEELb0EEESY_EEENS6_IJNSG_IJLi0EEEENSG_IJLi1EEEENSG_IJLi2EEEENSG_IJLi4EEEENSG_IJLi3EEEEEEENS6_IJNSG_IJLi1ELi2EEEES18_S17_NSG_IJLi5ELi6EEEENSG_IJLi7EEEEEEENSG_IJLi5ELi7ELi6EEEElEES1F_NS6_IJNSQ_INS6_IJSW_SY_SY_NSZ_INS6_IJiNST_IiLi64EEEEEELb0EEES1I_EEENS6_IJS14_S15_S16_S18_S17_EEENS6_IJS1A_S18_S17_S1B_NSG_IJLi7ELi8EEEEEEENSG_IJLi5ELi6ELi7ELi8EEEElEES1O_EEES1O_NS_31BlockToCTileMap_M00_N0_M01AdaptILi64ELi64ENSQ_INS6_IJSW_SY_SY_EEENS6_IJS14_S15_S16_EEENS6_IJS1A_S18_S17_EEENSG_IJLi3ELi4EEEElEEiEELb1ELi2EEEvPKT0_PKT1_T2_PT3_T4_T5_T6_T7_T8_T9_T10_T11_
		.amdhsa_group_segment_fixed_size 32768
		.amdhsa_private_segment_fixed_size 16
		.amdhsa_kernarg_size 364
		.amdhsa_user_sgpr_count 6
		.amdhsa_user_sgpr_private_segment_buffer 1
		.amdhsa_user_sgpr_dispatch_ptr 0
		.amdhsa_user_sgpr_queue_ptr 0
		.amdhsa_user_sgpr_kernarg_segment_ptr 1
		.amdhsa_user_sgpr_dispatch_id 0
		.amdhsa_user_sgpr_flat_scratch_init 0
		.amdhsa_user_sgpr_kernarg_preload_length 0
		.amdhsa_user_sgpr_kernarg_preload_offset 0
		.amdhsa_user_sgpr_private_segment_size 0
		.amdhsa_uses_dynamic_stack 0
		.amdhsa_system_sgpr_private_segment_wavefront_offset 1
		.amdhsa_system_sgpr_workgroup_id_x 1
		.amdhsa_system_sgpr_workgroup_id_y 0
		.amdhsa_system_sgpr_workgroup_id_z 0
		.amdhsa_system_sgpr_workgroup_info 0
		.amdhsa_system_vgpr_workitem_id 0
		.amdhsa_next_free_vgpr 256
		.amdhsa_next_free_sgpr 92
		.amdhsa_accum_offset 256
		.amdhsa_reserve_vcc 1
		.amdhsa_reserve_flat_scratch 0
		.amdhsa_float_round_mode_32 0
		.amdhsa_float_round_mode_16_64 0
		.amdhsa_float_denorm_mode_32 3
		.amdhsa_float_denorm_mode_16_64 3
		.amdhsa_dx10_clamp 1
		.amdhsa_ieee_mode 1
		.amdhsa_fp16_overflow 0
		.amdhsa_tg_split 0
		.amdhsa_exception_fp_ieee_invalid_op 0
		.amdhsa_exception_fp_denorm_src 0
		.amdhsa_exception_fp_ieee_div_zero 0
		.amdhsa_exception_fp_ieee_overflow 0
		.amdhsa_exception_fp_ieee_underflow 0
		.amdhsa_exception_fp_ieee_inexact 0
		.amdhsa_exception_int_div_zero 0
	.end_amdhsa_kernel
	.section	.text._ZN2ck51kernel_gemm_multiple_d_xdl_cshuffle_lds_direct_loadINS_48GridwiseGemmMultipleD_Xdl_CShuffle_LdsDirectLoadINS_13tensor_layout4gemm8RowMajorENS3_11ColumnMajorENS_5TupleIJS4_S4_EEES4_fffffNS6_IJffEEEfNS_16tensor_operation12element_wise11PassThroughESB_NSA_14AddAddFastGeluELNS_25InMemoryDataOperationEnumE0ELNS9_6device18GemmSpecializationE0ELi1ELi64ELi64ELi64ELi64ELi8ELi8ELi32ELi32ELi2ELi2ENS_8SequenceIJLi8ELi1ELi8EEEENSG_IJLi1ELi0ELi2EEEELi2ELi1ELi0ESH_SI_Li2ELi1ELi0ELi1ELi1ENSG_IJLi1ELi8ELi1ELi8EEEELi4ELNS_13LoopSchedulerE0ELNS_15PipelineVersionE2EfEEffNS6_IJPKfSO_EEEfSB_SB_SC_NS_16TensorDescriptorINS6_IJNS_5EmbedINS6_IJiiEEENS6_IJiNS_17integral_constantIiLi1EEEEEELb0EEENS_11PassThroughIiEESY_NS_7UnMergeINS6_IJiNST_IiLi8EEEEEELb0EEESY_EEENS6_IJNSG_IJLi0EEEENSG_IJLi1EEEENSG_IJLi2EEEENSG_IJLi4EEEENSG_IJLi3EEEEEEENS6_IJNSG_IJLi1ELi2EEEES18_S17_NSG_IJLi5ELi6EEEENSG_IJLi7EEEEEEENSG_IJLi5ELi7ELi6EEEElEES1F_NS6_IJNSQ_INS6_IJSW_SY_SY_NSZ_INS6_IJiNST_IiLi64EEEEEELb0EEES1I_EEENS6_IJS14_S15_S16_S18_S17_EEENS6_IJS1A_S18_S17_S1B_NSG_IJLi7ELi8EEEEEEENSG_IJLi5ELi6ELi7ELi8EEEElEES1O_EEES1O_NS_31BlockToCTileMap_M00_N0_M01AdaptILi64ELi64ENSQ_INS6_IJSW_SY_SY_EEENS6_IJS14_S15_S16_EEENS6_IJS1A_S18_S17_EEENSG_IJLi3ELi4EEEElEEiEELb1ELi2EEEvPKT0_PKT1_T2_PT3_T4_T5_T6_T7_T8_T9_T10_T11_,"axG",@progbits,_ZN2ck51kernel_gemm_multiple_d_xdl_cshuffle_lds_direct_loadINS_48GridwiseGemmMultipleD_Xdl_CShuffle_LdsDirectLoadINS_13tensor_layout4gemm8RowMajorENS3_11ColumnMajorENS_5TupleIJS4_S4_EEES4_fffffNS6_IJffEEEfNS_16tensor_operation12element_wise11PassThroughESB_NSA_14AddAddFastGeluELNS_25InMemoryDataOperationEnumE0ELNS9_6device18GemmSpecializationE0ELi1ELi64ELi64ELi64ELi64ELi8ELi8ELi32ELi32ELi2ELi2ENS_8SequenceIJLi8ELi1ELi8EEEENSG_IJLi1ELi0ELi2EEEELi2ELi1ELi0ESH_SI_Li2ELi1ELi0ELi1ELi1ENSG_IJLi1ELi8ELi1ELi8EEEELi4ELNS_13LoopSchedulerE0ELNS_15PipelineVersionE2EfEEffNS6_IJPKfSO_EEEfSB_SB_SC_NS_16TensorDescriptorINS6_IJNS_5EmbedINS6_IJiiEEENS6_IJiNS_17integral_constantIiLi1EEEEEELb0EEENS_11PassThroughIiEESY_NS_7UnMergeINS6_IJiNST_IiLi8EEEEEELb0EEESY_EEENS6_IJNSG_IJLi0EEEENSG_IJLi1EEEENSG_IJLi2EEEENSG_IJLi4EEEENSG_IJLi3EEEEEEENS6_IJNSG_IJLi1ELi2EEEES18_S17_NSG_IJLi5ELi6EEEENSG_IJLi7EEEEEEENSG_IJLi5ELi7ELi6EEEElEES1F_NS6_IJNSQ_INS6_IJSW_SY_SY_NSZ_INS6_IJiNST_IiLi64EEEEEELb0EEES1I_EEENS6_IJS14_S15_S16_S18_S17_EEENS6_IJS1A_S18_S17_S1B_NSG_IJLi7ELi8EEEEEEENSG_IJLi5ELi6ELi7ELi8EEEElEES1O_EEES1O_NS_31BlockToCTileMap_M00_N0_M01AdaptILi64ELi64ENSQ_INS6_IJSW_SY_SY_EEENS6_IJS14_S15_S16_EEENS6_IJS1A_S18_S17_EEENSG_IJLi3ELi4EEEElEEiEELb1ELi2EEEvPKT0_PKT1_T2_PT3_T4_T5_T6_T7_T8_T9_T10_T11_,comdat
.Lfunc_end1:
	.size	_ZN2ck51kernel_gemm_multiple_d_xdl_cshuffle_lds_direct_loadINS_48GridwiseGemmMultipleD_Xdl_CShuffle_LdsDirectLoadINS_13tensor_layout4gemm8RowMajorENS3_11ColumnMajorENS_5TupleIJS4_S4_EEES4_fffffNS6_IJffEEEfNS_16tensor_operation12element_wise11PassThroughESB_NSA_14AddAddFastGeluELNS_25InMemoryDataOperationEnumE0ELNS9_6device18GemmSpecializationE0ELi1ELi64ELi64ELi64ELi64ELi8ELi8ELi32ELi32ELi2ELi2ENS_8SequenceIJLi8ELi1ELi8EEEENSG_IJLi1ELi0ELi2EEEELi2ELi1ELi0ESH_SI_Li2ELi1ELi0ELi1ELi1ENSG_IJLi1ELi8ELi1ELi8EEEELi4ELNS_13LoopSchedulerE0ELNS_15PipelineVersionE2EfEEffNS6_IJPKfSO_EEEfSB_SB_SC_NS_16TensorDescriptorINS6_IJNS_5EmbedINS6_IJiiEEENS6_IJiNS_17integral_constantIiLi1EEEEEELb0EEENS_11PassThroughIiEESY_NS_7UnMergeINS6_IJiNST_IiLi8EEEEEELb0EEESY_EEENS6_IJNSG_IJLi0EEEENSG_IJLi1EEEENSG_IJLi2EEEENSG_IJLi4EEEENSG_IJLi3EEEEEEENS6_IJNSG_IJLi1ELi2EEEES18_S17_NSG_IJLi5ELi6EEEENSG_IJLi7EEEEEEENSG_IJLi5ELi7ELi6EEEElEES1F_NS6_IJNSQ_INS6_IJSW_SY_SY_NSZ_INS6_IJiNST_IiLi64EEEEEELb0EEES1I_EEENS6_IJS14_S15_S16_S18_S17_EEENS6_IJS1A_S18_S17_S1B_NSG_IJLi7ELi8EEEEEEENSG_IJLi5ELi6ELi7ELi8EEEElEES1O_EEES1O_NS_31BlockToCTileMap_M00_N0_M01AdaptILi64ELi64ENSQ_INS6_IJSW_SY_SY_EEENS6_IJS14_S15_S16_EEENS6_IJS1A_S18_S17_EEENSG_IJLi3ELi4EEEElEEiEELb1ELi2EEEvPKT0_PKT1_T2_PT3_T4_T5_T6_T7_T8_T9_T10_T11_, .Lfunc_end1-_ZN2ck51kernel_gemm_multiple_d_xdl_cshuffle_lds_direct_loadINS_48GridwiseGemmMultipleD_Xdl_CShuffle_LdsDirectLoadINS_13tensor_layout4gemm8RowMajorENS3_11ColumnMajorENS_5TupleIJS4_S4_EEES4_fffffNS6_IJffEEEfNS_16tensor_operation12element_wise11PassThroughESB_NSA_14AddAddFastGeluELNS_25InMemoryDataOperationEnumE0ELNS9_6device18GemmSpecializationE0ELi1ELi64ELi64ELi64ELi64ELi8ELi8ELi32ELi32ELi2ELi2ENS_8SequenceIJLi8ELi1ELi8EEEENSG_IJLi1ELi0ELi2EEEELi2ELi1ELi0ESH_SI_Li2ELi1ELi0ELi1ELi1ENSG_IJLi1ELi8ELi1ELi8EEEELi4ELNS_13LoopSchedulerE0ELNS_15PipelineVersionE2EfEEffNS6_IJPKfSO_EEEfSB_SB_SC_NS_16TensorDescriptorINS6_IJNS_5EmbedINS6_IJiiEEENS6_IJiNS_17integral_constantIiLi1EEEEEELb0EEENS_11PassThroughIiEESY_NS_7UnMergeINS6_IJiNST_IiLi8EEEEEELb0EEESY_EEENS6_IJNSG_IJLi0EEEENSG_IJLi1EEEENSG_IJLi2EEEENSG_IJLi4EEEENSG_IJLi3EEEEEEENS6_IJNSG_IJLi1ELi2EEEES18_S17_NSG_IJLi5ELi6EEEENSG_IJLi7EEEEEEENSG_IJLi5ELi7ELi6EEEElEES1F_NS6_IJNSQ_INS6_IJSW_SY_SY_NSZ_INS6_IJiNST_IiLi64EEEEEELb0EEES1I_EEENS6_IJS14_S15_S16_S18_S17_EEENS6_IJS1A_S18_S17_S1B_NSG_IJLi7ELi8EEEEEEENSG_IJLi5ELi6ELi7ELi8EEEElEES1O_EEES1O_NS_31BlockToCTileMap_M00_N0_M01AdaptILi64ELi64ENSQ_INS6_IJSW_SY_SY_EEENS6_IJS14_S15_S16_EEENS6_IJS1A_S18_S17_EEENSG_IJLi3ELi4EEEElEEiEELb1ELi2EEEvPKT0_PKT1_T2_PT3_T4_T5_T6_T7_T8_T9_T10_T11_
                                        ; -- End function
	.section	.AMDGPU.csdata,"",@progbits
; Kernel info:
; codeLenInByte = 26692
; NumSgprs: 96
; NumVgprs: 256
; NumAgprs: 0
; TotalNumVgprs: 256
; ScratchSize: 16
; MemoryBound: 0
; FloatMode: 240
; IeeeMode: 1
; LDSByteSize: 32768 bytes/workgroup (compile time only)
; SGPRBlocks: 11
; VGPRBlocks: 31
; NumSGPRsForWavesPerEU: 96
; NumVGPRsForWavesPerEU: 256
; AccumOffset: 256
; Occupancy: 1
; WaveLimiterHint : 0
; COMPUTE_PGM_RSRC2:SCRATCH_EN: 1
; COMPUTE_PGM_RSRC2:USER_SGPR: 6
; COMPUTE_PGM_RSRC2:TRAP_HANDLER: 0
; COMPUTE_PGM_RSRC2:TGID_X_EN: 1
; COMPUTE_PGM_RSRC2:TGID_Y_EN: 0
; COMPUTE_PGM_RSRC2:TGID_Z_EN: 0
; COMPUTE_PGM_RSRC2:TIDIG_COMP_CNT: 0
; COMPUTE_PGM_RSRC3_GFX90A:ACCUM_OFFSET: 63
; COMPUTE_PGM_RSRC3_GFX90A:TG_SPLIT: 0
	.section	.text._ZN2ck51kernel_gemm_multiple_d_xdl_cshuffle_lds_direct_loadINS_48GridwiseGemmMultipleD_Xdl_CShuffle_LdsDirectLoadINS_13tensor_layout4gemm8RowMajorENS3_11ColumnMajorENS_5TupleIJS4_S4_EEES4_fffffNS6_IJffEEEfNS_16tensor_operation12element_wise11PassThroughESB_NSA_14AddAddFastGeluELNS_25InMemoryDataOperationEnumE0ELNS9_6device18GemmSpecializationE0ELi1ELi64ELi64ELi64ELi64ELi8ELi8ELi32ELi32ELi2ELi2ENS_8SequenceIJLi8ELi1ELi8EEEENSG_IJLi1ELi0ELi2EEEELi2ELi1ELi0ESH_SI_Li2ELi1ELi0ELi1ELi1ENSG_IJLi1ELi8ELi1ELi8EEEELi4ELNS_13LoopSchedulerE0ELNS_15PipelineVersionE2EfEEffNS6_IJPKfSO_EEEfSB_SB_SC_NS_16TensorDescriptorINS6_IJNS_5EmbedINS6_IJiiEEENS6_IJiNS_17integral_constantIiLi1EEEEEELb0EEENS_11PassThroughIiEESY_NS_7UnMergeINS6_IJiNST_IiLi8EEEEEELb0EEESY_EEENS6_IJNSG_IJLi0EEEENSG_IJLi1EEEENSG_IJLi2EEEENSG_IJLi4EEEENSG_IJLi3EEEEEEENS6_IJNSG_IJLi1ELi2EEEES18_S17_NSG_IJLi5ELi6EEEENSG_IJLi7EEEEEEENSG_IJLi5ELi7ELi6EEEElEES1F_NS6_IJNSQ_INS6_IJSW_SY_SY_NSZ_INS6_IJiNST_IiLi64EEEEEELb0EEES1I_EEENS6_IJS14_S15_S16_S18_S17_EEENS6_IJS1A_S18_S17_S1B_NSG_IJLi7ELi8EEEEEEENSG_IJLi5ELi6ELi7ELi8EEEElEES1O_EEES1O_NS_31BlockToCTileMap_M00_N0_M01AdaptILi64ELi64ENSQ_INS6_IJSW_SY_SY_EEENS6_IJS14_S15_S16_EEENS6_IJS1A_S18_S17_EEENSG_IJLi3ELi4EEEElEEiEELb0ELi2EEEvPKT0_PKT1_T2_PT3_T4_T5_T6_T7_T8_T9_T10_T11_,"axG",@progbits,_ZN2ck51kernel_gemm_multiple_d_xdl_cshuffle_lds_direct_loadINS_48GridwiseGemmMultipleD_Xdl_CShuffle_LdsDirectLoadINS_13tensor_layout4gemm8RowMajorENS3_11ColumnMajorENS_5TupleIJS4_S4_EEES4_fffffNS6_IJffEEEfNS_16tensor_operation12element_wise11PassThroughESB_NSA_14AddAddFastGeluELNS_25InMemoryDataOperationEnumE0ELNS9_6device18GemmSpecializationE0ELi1ELi64ELi64ELi64ELi64ELi8ELi8ELi32ELi32ELi2ELi2ENS_8SequenceIJLi8ELi1ELi8EEEENSG_IJLi1ELi0ELi2EEEELi2ELi1ELi0ESH_SI_Li2ELi1ELi0ELi1ELi1ENSG_IJLi1ELi8ELi1ELi8EEEELi4ELNS_13LoopSchedulerE0ELNS_15PipelineVersionE2EfEEffNS6_IJPKfSO_EEEfSB_SB_SC_NS_16TensorDescriptorINS6_IJNS_5EmbedINS6_IJiiEEENS6_IJiNS_17integral_constantIiLi1EEEEEELb0EEENS_11PassThroughIiEESY_NS_7UnMergeINS6_IJiNST_IiLi8EEEEEELb0EEESY_EEENS6_IJNSG_IJLi0EEEENSG_IJLi1EEEENSG_IJLi2EEEENSG_IJLi4EEEENSG_IJLi3EEEEEEENS6_IJNSG_IJLi1ELi2EEEES18_S17_NSG_IJLi5ELi6EEEENSG_IJLi7EEEEEEENSG_IJLi5ELi7ELi6EEEElEES1F_NS6_IJNSQ_INS6_IJSW_SY_SY_NSZ_INS6_IJiNST_IiLi64EEEEEELb0EEES1I_EEENS6_IJS14_S15_S16_S18_S17_EEENS6_IJS1A_S18_S17_S1B_NSG_IJLi7ELi8EEEEEEENSG_IJLi5ELi6ELi7ELi8EEEElEES1O_EEES1O_NS_31BlockToCTileMap_M00_N0_M01AdaptILi64ELi64ENSQ_INS6_IJSW_SY_SY_EEENS6_IJS14_S15_S16_EEENS6_IJS1A_S18_S17_EEENSG_IJLi3ELi4EEEElEEiEELb0ELi2EEEvPKT0_PKT1_T2_PT3_T4_T5_T6_T7_T8_T9_T10_T11_,comdat
	.protected	_ZN2ck51kernel_gemm_multiple_d_xdl_cshuffle_lds_direct_loadINS_48GridwiseGemmMultipleD_Xdl_CShuffle_LdsDirectLoadINS_13tensor_layout4gemm8RowMajorENS3_11ColumnMajorENS_5TupleIJS4_S4_EEES4_fffffNS6_IJffEEEfNS_16tensor_operation12element_wise11PassThroughESB_NSA_14AddAddFastGeluELNS_25InMemoryDataOperationEnumE0ELNS9_6device18GemmSpecializationE0ELi1ELi64ELi64ELi64ELi64ELi8ELi8ELi32ELi32ELi2ELi2ENS_8SequenceIJLi8ELi1ELi8EEEENSG_IJLi1ELi0ELi2EEEELi2ELi1ELi0ESH_SI_Li2ELi1ELi0ELi1ELi1ENSG_IJLi1ELi8ELi1ELi8EEEELi4ELNS_13LoopSchedulerE0ELNS_15PipelineVersionE2EfEEffNS6_IJPKfSO_EEEfSB_SB_SC_NS_16TensorDescriptorINS6_IJNS_5EmbedINS6_IJiiEEENS6_IJiNS_17integral_constantIiLi1EEEEEELb0EEENS_11PassThroughIiEESY_NS_7UnMergeINS6_IJiNST_IiLi8EEEEEELb0EEESY_EEENS6_IJNSG_IJLi0EEEENSG_IJLi1EEEENSG_IJLi2EEEENSG_IJLi4EEEENSG_IJLi3EEEEEEENS6_IJNSG_IJLi1ELi2EEEES18_S17_NSG_IJLi5ELi6EEEENSG_IJLi7EEEEEEENSG_IJLi5ELi7ELi6EEEElEES1F_NS6_IJNSQ_INS6_IJSW_SY_SY_NSZ_INS6_IJiNST_IiLi64EEEEEELb0EEES1I_EEENS6_IJS14_S15_S16_S18_S17_EEENS6_IJS1A_S18_S17_S1B_NSG_IJLi7ELi8EEEEEEENSG_IJLi5ELi6ELi7ELi8EEEElEES1O_EEES1O_NS_31BlockToCTileMap_M00_N0_M01AdaptILi64ELi64ENSQ_INS6_IJSW_SY_SY_EEENS6_IJS14_S15_S16_EEENS6_IJS1A_S18_S17_EEENSG_IJLi3ELi4EEEElEEiEELb0ELi2EEEvPKT0_PKT1_T2_PT3_T4_T5_T6_T7_T8_T9_T10_T11_ ; -- Begin function _ZN2ck51kernel_gemm_multiple_d_xdl_cshuffle_lds_direct_loadINS_48GridwiseGemmMultipleD_Xdl_CShuffle_LdsDirectLoadINS_13tensor_layout4gemm8RowMajorENS3_11ColumnMajorENS_5TupleIJS4_S4_EEES4_fffffNS6_IJffEEEfNS_16tensor_operation12element_wise11PassThroughESB_NSA_14AddAddFastGeluELNS_25InMemoryDataOperationEnumE0ELNS9_6device18GemmSpecializationE0ELi1ELi64ELi64ELi64ELi64ELi8ELi8ELi32ELi32ELi2ELi2ENS_8SequenceIJLi8ELi1ELi8EEEENSG_IJLi1ELi0ELi2EEEELi2ELi1ELi0ESH_SI_Li2ELi1ELi0ELi1ELi1ENSG_IJLi1ELi8ELi1ELi8EEEELi4ELNS_13LoopSchedulerE0ELNS_15PipelineVersionE2EfEEffNS6_IJPKfSO_EEEfSB_SB_SC_NS_16TensorDescriptorINS6_IJNS_5EmbedINS6_IJiiEEENS6_IJiNS_17integral_constantIiLi1EEEEEELb0EEENS_11PassThroughIiEESY_NS_7UnMergeINS6_IJiNST_IiLi8EEEEEELb0EEESY_EEENS6_IJNSG_IJLi0EEEENSG_IJLi1EEEENSG_IJLi2EEEENSG_IJLi4EEEENSG_IJLi3EEEEEEENS6_IJNSG_IJLi1ELi2EEEES18_S17_NSG_IJLi5ELi6EEEENSG_IJLi7EEEEEEENSG_IJLi5ELi7ELi6EEEElEES1F_NS6_IJNSQ_INS6_IJSW_SY_SY_NSZ_INS6_IJiNST_IiLi64EEEEEELb0EEES1I_EEENS6_IJS14_S15_S16_S18_S17_EEENS6_IJS1A_S18_S17_S1B_NSG_IJLi7ELi8EEEEEEENSG_IJLi5ELi6ELi7ELi8EEEElEES1O_EEES1O_NS_31BlockToCTileMap_M00_N0_M01AdaptILi64ELi64ENSQ_INS6_IJSW_SY_SY_EEENS6_IJS14_S15_S16_EEENS6_IJS1A_S18_S17_EEENSG_IJLi3ELi4EEEElEEiEELb0ELi2EEEvPKT0_PKT1_T2_PT3_T4_T5_T6_T7_T8_T9_T10_T11_
	.globl	_ZN2ck51kernel_gemm_multiple_d_xdl_cshuffle_lds_direct_loadINS_48GridwiseGemmMultipleD_Xdl_CShuffle_LdsDirectLoadINS_13tensor_layout4gemm8RowMajorENS3_11ColumnMajorENS_5TupleIJS4_S4_EEES4_fffffNS6_IJffEEEfNS_16tensor_operation12element_wise11PassThroughESB_NSA_14AddAddFastGeluELNS_25InMemoryDataOperationEnumE0ELNS9_6device18GemmSpecializationE0ELi1ELi64ELi64ELi64ELi64ELi8ELi8ELi32ELi32ELi2ELi2ENS_8SequenceIJLi8ELi1ELi8EEEENSG_IJLi1ELi0ELi2EEEELi2ELi1ELi0ESH_SI_Li2ELi1ELi0ELi1ELi1ENSG_IJLi1ELi8ELi1ELi8EEEELi4ELNS_13LoopSchedulerE0ELNS_15PipelineVersionE2EfEEffNS6_IJPKfSO_EEEfSB_SB_SC_NS_16TensorDescriptorINS6_IJNS_5EmbedINS6_IJiiEEENS6_IJiNS_17integral_constantIiLi1EEEEEELb0EEENS_11PassThroughIiEESY_NS_7UnMergeINS6_IJiNST_IiLi8EEEEEELb0EEESY_EEENS6_IJNSG_IJLi0EEEENSG_IJLi1EEEENSG_IJLi2EEEENSG_IJLi4EEEENSG_IJLi3EEEEEEENS6_IJNSG_IJLi1ELi2EEEES18_S17_NSG_IJLi5ELi6EEEENSG_IJLi7EEEEEEENSG_IJLi5ELi7ELi6EEEElEES1F_NS6_IJNSQ_INS6_IJSW_SY_SY_NSZ_INS6_IJiNST_IiLi64EEEEEELb0EEES1I_EEENS6_IJS14_S15_S16_S18_S17_EEENS6_IJS1A_S18_S17_S1B_NSG_IJLi7ELi8EEEEEEENSG_IJLi5ELi6ELi7ELi8EEEElEES1O_EEES1O_NS_31BlockToCTileMap_M00_N0_M01AdaptILi64ELi64ENSQ_INS6_IJSW_SY_SY_EEENS6_IJS14_S15_S16_EEENS6_IJS1A_S18_S17_EEENSG_IJLi3ELi4EEEElEEiEELb0ELi2EEEvPKT0_PKT1_T2_PT3_T4_T5_T6_T7_T8_T9_T10_T11_
	.p2align	8
	.type	_ZN2ck51kernel_gemm_multiple_d_xdl_cshuffle_lds_direct_loadINS_48GridwiseGemmMultipleD_Xdl_CShuffle_LdsDirectLoadINS_13tensor_layout4gemm8RowMajorENS3_11ColumnMajorENS_5TupleIJS4_S4_EEES4_fffffNS6_IJffEEEfNS_16tensor_operation12element_wise11PassThroughESB_NSA_14AddAddFastGeluELNS_25InMemoryDataOperationEnumE0ELNS9_6device18GemmSpecializationE0ELi1ELi64ELi64ELi64ELi64ELi8ELi8ELi32ELi32ELi2ELi2ENS_8SequenceIJLi8ELi1ELi8EEEENSG_IJLi1ELi0ELi2EEEELi2ELi1ELi0ESH_SI_Li2ELi1ELi0ELi1ELi1ENSG_IJLi1ELi8ELi1ELi8EEEELi4ELNS_13LoopSchedulerE0ELNS_15PipelineVersionE2EfEEffNS6_IJPKfSO_EEEfSB_SB_SC_NS_16TensorDescriptorINS6_IJNS_5EmbedINS6_IJiiEEENS6_IJiNS_17integral_constantIiLi1EEEEEELb0EEENS_11PassThroughIiEESY_NS_7UnMergeINS6_IJiNST_IiLi8EEEEEELb0EEESY_EEENS6_IJNSG_IJLi0EEEENSG_IJLi1EEEENSG_IJLi2EEEENSG_IJLi4EEEENSG_IJLi3EEEEEEENS6_IJNSG_IJLi1ELi2EEEES18_S17_NSG_IJLi5ELi6EEEENSG_IJLi7EEEEEEENSG_IJLi5ELi7ELi6EEEElEES1F_NS6_IJNSQ_INS6_IJSW_SY_SY_NSZ_INS6_IJiNST_IiLi64EEEEEELb0EEES1I_EEENS6_IJS14_S15_S16_S18_S17_EEENS6_IJS1A_S18_S17_S1B_NSG_IJLi7ELi8EEEEEEENSG_IJLi5ELi6ELi7ELi8EEEElEES1O_EEES1O_NS_31BlockToCTileMap_M00_N0_M01AdaptILi64ELi64ENSQ_INS6_IJSW_SY_SY_EEENS6_IJS14_S15_S16_EEENS6_IJS1A_S18_S17_EEENSG_IJLi3ELi4EEEElEEiEELb0ELi2EEEvPKT0_PKT1_T2_PT3_T4_T5_T6_T7_T8_T9_T10_T11_,@function
_ZN2ck51kernel_gemm_multiple_d_xdl_cshuffle_lds_direct_loadINS_48GridwiseGemmMultipleD_Xdl_CShuffle_LdsDirectLoadINS_13tensor_layout4gemm8RowMajorENS3_11ColumnMajorENS_5TupleIJS4_S4_EEES4_fffffNS6_IJffEEEfNS_16tensor_operation12element_wise11PassThroughESB_NSA_14AddAddFastGeluELNS_25InMemoryDataOperationEnumE0ELNS9_6device18GemmSpecializationE0ELi1ELi64ELi64ELi64ELi64ELi8ELi8ELi32ELi32ELi2ELi2ENS_8SequenceIJLi8ELi1ELi8EEEENSG_IJLi1ELi0ELi2EEEELi2ELi1ELi0ESH_SI_Li2ELi1ELi0ELi1ELi1ENSG_IJLi1ELi8ELi1ELi8EEEELi4ELNS_13LoopSchedulerE0ELNS_15PipelineVersionE2EfEEffNS6_IJPKfSO_EEEfSB_SB_SC_NS_16TensorDescriptorINS6_IJNS_5EmbedINS6_IJiiEEENS6_IJiNS_17integral_constantIiLi1EEEEEELb0EEENS_11PassThroughIiEESY_NS_7UnMergeINS6_IJiNST_IiLi8EEEEEELb0EEESY_EEENS6_IJNSG_IJLi0EEEENSG_IJLi1EEEENSG_IJLi2EEEENSG_IJLi4EEEENSG_IJLi3EEEEEEENS6_IJNSG_IJLi1ELi2EEEES18_S17_NSG_IJLi5ELi6EEEENSG_IJLi7EEEEEEENSG_IJLi5ELi7ELi6EEEElEES1F_NS6_IJNSQ_INS6_IJSW_SY_SY_NSZ_INS6_IJiNST_IiLi64EEEEEELb0EEES1I_EEENS6_IJS14_S15_S16_S18_S17_EEENS6_IJS1A_S18_S17_S1B_NSG_IJLi7ELi8EEEEEEENSG_IJLi5ELi6ELi7ELi8EEEElEES1O_EEES1O_NS_31BlockToCTileMap_M00_N0_M01AdaptILi64ELi64ENSQ_INS6_IJSW_SY_SY_EEENS6_IJS14_S15_S16_EEENS6_IJS1A_S18_S17_EEENSG_IJLi3ELi4EEEElEEiEELb0ELi2EEEvPKT0_PKT1_T2_PT3_T4_T5_T6_T7_T8_T9_T10_T11_: ; @_ZN2ck51kernel_gemm_multiple_d_xdl_cshuffle_lds_direct_loadINS_48GridwiseGemmMultipleD_Xdl_CShuffle_LdsDirectLoadINS_13tensor_layout4gemm8RowMajorENS3_11ColumnMajorENS_5TupleIJS4_S4_EEES4_fffffNS6_IJffEEEfNS_16tensor_operation12element_wise11PassThroughESB_NSA_14AddAddFastGeluELNS_25InMemoryDataOperationEnumE0ELNS9_6device18GemmSpecializationE0ELi1ELi64ELi64ELi64ELi64ELi8ELi8ELi32ELi32ELi2ELi2ENS_8SequenceIJLi8ELi1ELi8EEEENSG_IJLi1ELi0ELi2EEEELi2ELi1ELi0ESH_SI_Li2ELi1ELi0ELi1ELi1ENSG_IJLi1ELi8ELi1ELi8EEEELi4ELNS_13LoopSchedulerE0ELNS_15PipelineVersionE2EfEEffNS6_IJPKfSO_EEEfSB_SB_SC_NS_16TensorDescriptorINS6_IJNS_5EmbedINS6_IJiiEEENS6_IJiNS_17integral_constantIiLi1EEEEEELb0EEENS_11PassThroughIiEESY_NS_7UnMergeINS6_IJiNST_IiLi8EEEEEELb0EEESY_EEENS6_IJNSG_IJLi0EEEENSG_IJLi1EEEENSG_IJLi2EEEENSG_IJLi4EEEENSG_IJLi3EEEEEEENS6_IJNSG_IJLi1ELi2EEEES18_S17_NSG_IJLi5ELi6EEEENSG_IJLi7EEEEEEENSG_IJLi5ELi7ELi6EEEElEES1F_NS6_IJNSQ_INS6_IJSW_SY_SY_NSZ_INS6_IJiNST_IiLi64EEEEEELb0EEES1I_EEENS6_IJS14_S15_S16_S18_S17_EEENS6_IJS1A_S18_S17_S1B_NSG_IJLi7ELi8EEEEEEENSG_IJLi5ELi6ELi7ELi8EEEElEES1O_EEES1O_NS_31BlockToCTileMap_M00_N0_M01AdaptILi64ELi64ENSQ_INS6_IJSW_SY_SY_EEENS6_IJS14_S15_S16_EEENS6_IJS1A_S18_S17_EEENSG_IJLi3ELi4EEEElEEiEELb0ELi2EEEvPKT0_PKT1_T2_PT3_T4_T5_T6_T7_T8_T9_T10_T11_
; %bb.0:
	s_load_dwordx2 s[0:1], s[4:5], 0x160
	s_load_dword s2, s[4:5], 0x168
	s_ashr_i32 s8, s6, 31
	s_abs_i32 s6, s6
	s_mov_b32 m0, 0
	s_waitcnt lgkmcnt(0)
	s_add_i32 s1, s1, 63
	s_add_i32 s0, s0, 63
	s_ashr_i32 s3, s0, 31
	s_ashr_i32 s7, s1, 31
	s_lshr_b32 s3, s3, 26
	s_lshr_b32 s7, s7, 26
	s_add_i32 s0, s0, s3
	s_add_i32 s1, s1, s7
	s_ashr_i32 s3, s0, 6
	s_ashr_i32 s1, s1, 6
	s_mul_i32 s7, s1, s3
	s_abs_i32 s7, s7
	v_cvt_f32_u32_e32 v1, s7
	s_sub_i32 s9, 0, s7
	v_and_b32_e32 v14, 31, v0
	v_rcp_iflag_f32_e32 v1, v1
	v_mul_f32_e32 v1, 0x4f7ffffe, v1
	v_cvt_u32_f32_e32 v1, v1
	v_readfirstlane_b32 s10, v1
	s_mul_i32 s9, s9, s10
	s_mul_hi_u32 s9, s10, s9
	s_add_i32 s10, s10, s9
	s_mul_hi_u32 s9, s6, s10
	s_mul_i32 s9, s9, s7
	s_sub_i32 s6, s6, s9
	s_sub_i32 s9, s6, s7
	s_cmp_ge_u32 s6, s7
	s_cselect_b32 s6, s9, s6
	s_sub_i32 s9, s6, s7
	s_cmp_ge_u32 s6, s7
	s_cselect_b32 s6, s9, s6
	s_abs_i32 s7, s1
	v_cvt_f32_u32_e32 v1, s7
	s_xor_b32 s6, s6, s8
	s_sub_i32 s6, s6, s8
	s_xor_b32 s8, s6, s1
	v_rcp_iflag_f32_e32 v1, v1
	s_sub_i32 s9, 0, s7
	s_ashr_i32 s16, s8, 31
	s_abs_i32 s10, s6
	v_mul_f32_e32 v1, 0x4f7ffffe, v1
	v_cvt_u32_f32_e32 v1, v1
	v_readfirstlane_b32 s8, v1
	s_mul_i32 s9, s9, s8
	s_mul_hi_u32 s9, s8, s9
	s_add_i32 s8, s8, s9
	s_mul_hi_u32 s8, s10, s8
	s_mul_i32 s9, s8, s7
	s_sub_i32 s9, s10, s9
	s_add_i32 s11, s8, 1
	s_sub_i32 s10, s9, s7
	s_cmp_ge_u32 s9, s7
	s_cselect_b32 s8, s11, s8
	s_cselect_b32 s9, s10, s9
	s_add_i32 s10, s8, 1
	s_cmp_ge_u32 s9, s7
	s_cselect_b32 s7, s10, s8
	s_abs_i32 s17, s2
	v_cvt_f32_u32_e32 v1, s17
	s_sub_i32 s19, 0, s17
	s_abs_i32 s18, s3
	s_xor_b32 s7, s7, s16
	v_rcp_iflag_f32_e32 v1, v1
	s_ashr_i32 s0, s0, 31
	s_sub_i32 s7, s7, s16
	s_mul_i32 s16, s7, s1
	v_mul_f32_e32 v1, 0x4f7ffffe, v1
	v_cvt_u32_f32_e32 v1, v1
	s_load_dwordx8 s[8:15], s[4:5], 0x0
	v_readfirstlane_b32 s20, v1
	s_mul_i32 s19, s19, s20
	s_mul_hi_u32 s19, s20, s19
	s_add_i32 s20, s20, s19
	s_mul_hi_u32 s19, s18, s20
	s_mul_i32 s19, s19, s17
	s_sub_i32 s18, s18, s19
	s_sub_i32 s19, s18, s17
	s_cmp_ge_u32 s18, s17
	s_cselect_b32 s18, s19, s18
	s_sub_i32 s19, s18, s17
	s_cmp_ge_u32 s18, s17
	s_cselect_b32 s18, s19, s18
	s_xor_b32 s18, s18, s0
	s_sub_i32 s0, s18, s0
	s_sub_i32 s3, s3, s0
	s_cmp_lt_i32 s7, s3
	s_cselect_b32 s0, s2, s0
	s_sub_i32 s2, s6, s16
	s_abs_i32 s6, s7
	s_mul_hi_u32 s16, s6, s20
	s_mul_i32 s16, s16, s17
	s_sub_i32 s6, s6, s16
	s_ashr_i32 s3, s7, 31
	s_sub_i32 s16, s6, s17
	s_cmp_ge_u32 s6, s17
	s_cselect_b32 s6, s16, s6
	s_sub_i32 s16, s6, s17
	s_cmp_ge_u32 s6, s17
	s_cselect_b32 s19, s16, s6
	s_abs_i32 s22, s0
	v_cvt_f32_u32_e32 v1, s22
	s_xor_b32 s19, s19, s3
	s_sub_i32 s3, s19, s3
	s_sub_i32 s24, 0, s22
	v_rcp_iflag_f32_e32 v1, v1
	s_mul_i32 s1, s3, s1
	s_add_i32 s1, s1, s2
	s_abs_i32 s19, s1
	v_mul_f32_e32 v1, 0x4f7ffffe, v1
	v_cvt_u32_f32_e32 v1, v1
	s_xor_b32 s2, s1, s0
	s_ashr_i32 s2, s2, 31
	s_load_dword s21, s[4:5], 0x38
	s_load_dword s23, s[4:5], 0x60
	s_load_dword s18, s[4:5], 0x70
	s_load_dword s20, s[4:5], 0x98
	s_load_dword s17, s[4:5], 0xa8
	s_load_dword s6, s[4:5], 0xd8
	s_load_dword s16, s[4:5], 0xe8
	v_readfirstlane_b32 s25, v1
	s_mul_i32 s24, s24, s25
	s_mul_hi_u32 s24, s25, s24
	s_add_i32 s25, s25, s24
	s_mul_hi_u32 s24, s19, s25
	s_mul_i32 s25, s24, s22
	s_sub_i32 s19, s19, s25
	s_add_i32 s25, s24, 1
	s_sub_i32 s26, s19, s22
	s_cmp_ge_u32 s19, s22
	s_cselect_b32 s24, s25, s24
	s_cselect_b32 s19, s26, s19
	s_add_i32 s25, s24, 1
	s_cmp_ge_u32 s19, s22
	s_cselect_b32 s19, s25, s24
	s_xor_b32 s19, s19, s2
	s_sub_i32 s2, s19, s2
	s_mul_i32 s0, s2, s0
	s_sub_i32 s0, s1, s0
	s_sub_i32 s1, s7, s3
	s_add_i32 s1, s1, s0
	s_lshl_b32 s7, s1, 6
	s_lshl_b32 s19, s2, 6
	s_waitcnt lgkmcnt(0)
	s_mul_i32 s0, s7, s21
	v_add_u32_e32 v2, s0, v0
	s_mul_i32 s0, s19, s18
	v_add_u32_e32 v3, s0, v0
	s_lshl_b32 s2, s23, 2
	s_mov_b32 s3, 0x20000
	s_mov_b32 s0, s8
	;; [unrolled: 1-line block ×3, first 2 shown]
	v_lshlrev_b32_e32 v4, 2, v2
	v_add_u32_e32 v2, s21, v2
	buffer_load_dword v4, s[0:3], 0 offen lds
	v_lshlrev_b32_e32 v4, 2, v2
	s_movk_i32 m0, 0x100
	v_add_u32_e32 v2, s21, v2
	buffer_load_dword v4, s[0:3], 0 offen lds
	v_lshlrev_b32_e32 v4, 2, v2
	s_movk_i32 m0, 0x200
	;; [unrolled: 4-line block ×62, first 2 shown]
	v_add_lshl_u32 v2, v2, s21, 2
	buffer_load_dword v4, s[0:3], 0 offen lds
	s_movk_i32 m0, 0x3f00
	s_add_i32 s9, 0, 0x4000
	buffer_load_dword v2, s[0:3], 0 offen lds
	s_lshl_b32 s2, s20, 2
	s_mov_b32 s0, s10
	s_mov_b32 s1, s11
	v_lshlrev_b32_e32 v2, 2, v3
	s_movk_i32 s8, 0x4000
	s_mov_b32 m0, s9
	s_add_i32 s9, s8, 0x100
	buffer_load_dword v2, s[0:3], 0 offen lds
	v_add_u32_e32 v2, s18, v3
	v_lshlrev_b32_e32 v3, 2, v2
	s_mov_b32 m0, s9
	v_add_u32_e32 v2, s18, v2
	s_add_i32 s9, s8, 0x200
	buffer_load_dword v3, s[0:3], 0 offen lds
	v_lshlrev_b32_e32 v3, 2, v2
	s_mov_b32 m0, s9
	v_add_u32_e32 v2, s18, v2
	s_add_i32 s9, s8, 0x300
	buffer_load_dword v3, s[0:3], 0 offen lds
	;; [unrolled: 5-line block ×59, first 2 shown]
	v_lshlrev_b32_e32 v3, 2, v2
	s_mov_b32 m0, s9
	v_add_u32_e32 v2, s18, v2
	s_add_i32 s9, s8, 0x3d00
	v_and_b32_e32 v1, 32, v0
	buffer_load_dword v3, s[0:3], 0 offen lds
	v_lshlrev_b32_e32 v3, 2, v2
	s_mov_b32 m0, s9
	v_add_u32_e32 v2, s18, v2
	s_add_i32 s9, s8, 0x3e00
	buffer_load_dword v3, s[0:3], 0 offen lds
	v_lshlrev_b32_e32 v3, 2, v2
	s_mov_b32 m0, s9
	s_addk_i32 s8, 0x3f00
	v_lshlrev_b32_e32 v1, 2, v1
	buffer_load_dword v3, s[0:3], 0 offen lds
	v_add_lshl_u32 v2, v2, s18, 2
	s_mov_b32 m0, s8
	v_lshl_or_b32 v1, v14, 8, v1
	buffer_load_dword v2, s[0:3], 0 offen lds
	;;#ASMSTART
	    s_waitcnt vmcnt(0) 
     s_waitcnt lgkmcnt(0) 
     s_barrier     
	;;#ASMEND
	s_waitcnt vmcnt(0)
	ds_read_b128 v[52:55], v1
	ds_read_b128 v[140:143], v1 offset:16384
	ds_read_b128 v[56:59], v1 offset:16
	s_waitcnt lgkmcnt(1)
	v_mfma_f32_32x32x2f32 v[32:47], v52, v140, 0
	ds_read_b128 v[136:139], v1 offset:16400
	ds_read_b128 v[60:63], v1 offset:32
	;; [unrolled: 1-line block ×18, first 2 shown]
	s_load_dword s0, s[4:5], 0x118
	s_load_dword s18, s[4:5], 0x128
	;; [unrolled: 1-line block ×3, first 2 shown]
	ds_read_b128 v[68:71], v1 offset:24656
	s_movk_i32 s1, 0x80
	v_mfma_f32_32x32x2f32 v[32:47], v53, v141, v[32:47]
	s_waitcnt lgkmcnt(0)
	s_lshl_b32 s2, s0, 2
	s_mov_b32 s0, s14
	s_load_dwordx2 s[4:5], s[4:5], 0x20
	v_mfma_f32_32x32x2f32 v[32:47], v54, v142, v[32:47]
	v_mfma_f32_32x32x2f32 v[32:47], v55, v143, v[32:47]
	;; [unrolled: 1-line block ×42, first 2 shown]
	ds_read_b128 v[56:59], v1 offset:24688
	ds_read_b128 v[60:63], v1 offset:24672
	;; [unrolled: 1-line block ×10, first 2 shown]
	v_lshlrev_b32_e32 v1, 2, v0
	v_lshrrev_b32_e32 v0, 1, v0
	v_and_b32_e32 v148, 28, v0
	v_and_b32_e32 v149, 28, v1
	s_waitcnt lgkmcnt(0)
	; wave barrier
	v_mfma_f32_32x32x2f32 v[32:47], v2, v48, v[32:47]
	v_mfma_f32_32x32x2f32 v[16:31], v144, v76, v[16:31]
	v_and_or_b32 v144, v1, s1, v14
	v_lshlrev_b32_e32 v144, 2, v144
	s_lshl_b32 s1, s6, 2
	v_mfma_f32_32x32x2f32 v[32:47], v3, v49, v[32:47]
	v_mfma_f32_32x32x2f32 v[16:31], v145, v77, v[16:31]
	v_add_u32_e32 v145, 0x400, v144
	v_mfma_f32_32x32x2f32 v[32:47], v4, v50, v[32:47]
	v_mfma_f32_32x32x2f32 v[16:31], v146, v78, v[16:31]
	v_or_b32_e32 v146, s19, v149
	s_mov_b32 s19, 0xc2ce8ed0
	v_mfma_f32_32x32x2f32 v[32:47], v5, v51, v[32:47]
	s_nop 7
	s_nop 7
	;; [unrolled: 1-line block ×3, first 2 shown]
	ds_write2_b32 v144, v32, v33 offset1:32
	ds_write2_b32 v144, v34, v35 offset0:64 offset1:96
	v_mfma_f32_32x32x2f32 v[16:31], v147, v79, v[16:31]
	v_or_b32_e32 v147, s7, v148
	v_mad_u64_u32 v[0:1], s[8:9], v147, s17, v[146:147]
	v_mad_u64_u32 v[14:15], s[8:9], v147, s16, v[146:147]
	s_mov_b64 s[8:9], s[12:13]
	s_mov_b64 s[10:11], s[14:15]
	ds_write2_b32 v145, v38, v39 offset0:64 offset1:96
	ds_write2_b32 v145, v36, v37 offset1:32
	v_add_u32_e32 v38, 0x800, v144
	v_add_u32_e32 v39, 0xc00, v144
	s_mov_b32 s10, s1
	s_mov_b32 s11, s3
	v_lshlrev_b32_e32 v1, 2, v0
	ds_write2_b32 v38, v40, v41 offset1:32
	ds_write2_b32 v38, v42, v43 offset0:64 offset1:96
	v_mfma_f32_32x32x2f32 v[16:31], v10, v68, v[16:31]
	ds_write2_b32 v39, v46, v47 offset0:64 offset1:96
	ds_write2_b32 v39, v44, v45 offset1:32
	s_waitcnt lgkmcnt(0)
	; wave barrier
	buffer_load_dwordx4 v[32:35], v1, s[8:11], 0 offen
	s_mov_b32 s1, s15
	v_lshlrev_b32_e32 v1, 2, v14
	buffer_load_dwordx4 v[40:43], v1, s[0:3], 0 offen
	v_lshlrev_b32_e32 v1, 2, v149
	v_lshl_or_b32 v37, v148, 7, v1
	ds_read_b128 v[44:47], v37
	s_mov_b32 s12, 0x3d92220c
	s_mov_b32 s14, 0xbfcc4231
	v_mov_b32_e32 v36, 0x7f800000
	v_mfma_f32_32x32x2f32 v[16:31], v11, v69, v[16:31]
	v_mad_u64_u32 v[10:11], s[6:7], v147, s18, v[146:147]
	ds_read_b128 v[146:149], v37 offset:128
	v_add_u32_e32 v150, s18, v10
	s_waitcnt vmcnt(1) lgkmcnt(0)
	v_pk_add_f32 v[34:35], v[46:47], v[34:35]
	v_mfma_f32_32x32x2f32 v[16:31], v12, v70, v[16:31]
	v_pk_add_f32 v[32:33], v[44:45], v[32:33]
	s_waitcnt vmcnt(0)
	v_pk_add_f32 v[34:35], v[34:35], v[42:43]
	v_pk_add_f32 v[32:33], v[32:33], v[40:41]
	v_pk_mul_f32 v[40:41], v[34:35], s[12:13] op_sel_hi:[1,0]
	v_pk_fma_f32 v[40:41], v[34:35], v[40:41], s[14:15] op_sel_hi:[1,1,0] neg_lo:[1,0,0] neg_hi:[1,0,0]
	v_pk_mul_f32 v[40:41], v[34:35], v[40:41]
	s_mov_b32 s15, 0x3fb8aa3b
	v_mul_f32_e32 v1, 0x3fb8aa3b, v41
	v_fma_f32 v11, v41, s15, -v1
	v_rndne_f32_e32 v12, v1
	v_fmac_f32_e32 v11, 0x32a5705f, v41
	v_sub_f32_e32 v1, v1, v12
	v_add_f32_e32 v1, v1, v11
	v_exp_f32_e32 v1, v1
	v_cvt_i32_f32_e32 v11, v12
	v_mfma_f32_32x32x2f32 v[16:31], v13, v71, v[16:31]
	v_pk_mul_f32 v[42:43], v[32:33], s[12:13] op_sel_hi:[1,0]
	v_pk_fma_f32 v[42:43], v[32:33], v[42:43], s[14:15] op_sel_hi:[1,1,0] neg_lo:[1,0,0] neg_hi:[1,0,0]
	v_ldexp_f32 v1, v1, v11
	v_mul_f32_e32 v11, 0x3fb8aa3b, v40
	v_pk_mul_f32 v[12:13], v[32:33], v[42:43]
	v_fma_f32 v15, v40, s15, -v11
	v_rndne_f32_e32 v42, v11
	v_fmac_f32_e32 v15, 0x32a5705f, v40
	v_sub_f32_e32 v11, v11, v42
	v_add_f32_e32 v11, v11, v15
	v_exp_f32_e32 v11, v11
	v_cvt_i32_f32_e32 v15, v42
	v_cmp_ngt_f32_e32 vcc, s19, v41
	s_mov_b32 s13, 0x42b17218
	v_cndmask_b32_e32 v1, 0, v1, vcc
	v_mfma_f32_32x32x2f32 v[16:31], v6, v60, v[16:31]
	v_cmp_nlt_f32_e32 vcc, s13, v41
	v_mul_f32_e32 v6, 0x3fb8aa3b, v13
	v_cndmask_b32_e32 v41, v36, v1, vcc
	v_ldexp_f32 v1, v11, v15
	v_fma_f32 v11, v13, s15, -v6
	v_rndne_f32_e32 v15, v6
	v_fmac_f32_e32 v11, 0x32a5705f, v13
	v_sub_f32_e32 v6, v6, v15
	v_add_f32_e32 v6, v6, v11
	v_exp_f32_e32 v6, v6
	v_cvt_i32_f32_e32 v11, v15
	v_cmp_ngt_f32_e32 vcc, s19, v40
	v_cndmask_b32_e32 v1, 0, v1, vcc
	v_cmp_nlt_f32_e32 vcc, s13, v40
	v_cndmask_b32_e32 v40, v36, v1, vcc
	v_mfma_f32_32x32x2f32 v[16:31], v7, v61, v[16:31]
	v_ldexp_f32 v1, v6, v11
	v_mul_f32_e32 v6, 0x3fb8aa3b, v12
	v_fma_f32 v7, v12, s15, -v6
	v_rndne_f32_e32 v11, v6
	v_fmac_f32_e32 v7, 0x32a5705f, v12
	v_sub_f32_e32 v6, v6, v11
	v_add_f32_e32 v6, v6, v7
	v_exp_f32_e32 v6, v6
	v_cvt_i32_f32_e32 v11, v11
	v_cmp_ngt_f32_e32 vcc, s19, v13
	v_pk_add_f32 v[40:41], v[40:41], 1.0 op_sel_hi:[1,0]
	v_cndmask_b32_e32 v1, 0, v1, vcc
	v_cmp_nlt_f32_e32 vcc, s13, v13
	v_cndmask_b32_e32 v7, v36, v1, vcc
	v_ldexp_f32 v1, v6, v11
	v_mfma_f32_32x32x2f32 v[16:31], v8, v62, v[16:31]
	v_div_scale_f32 v8, s[6:7], v41, v41, 1.0
	v_rcp_f32_e32 v11, v8
	v_cmp_ngt_f32_e32 vcc, s19, v12
	v_cndmask_b32_e32 v1, 0, v1, vcc
	v_cmp_nlt_f32_e32 vcc, s13, v12
	v_cndmask_b32_e32 v6, v36, v1, vcc
	v_fma_f32 v1, -v8, v11, 1.0
	v_fmac_f32_e32 v11, v1, v11
	v_div_scale_f32 v1, vcc, 1.0, v41, 1.0
	v_mul_f32_e32 v12, v1, v11
	v_fma_f32 v13, -v8, v12, v1
	v_fmac_f32_e32 v12, v13, v11
	v_fma_f32 v1, -v8, v12, v1
	v_mfma_f32_32x32x2f32 v[16:31], v9, v63, v[16:31]
	v_div_scale_f32 v8, s[6:7], v40, v40, 1.0
	v_rcp_f32_e32 v13, v8
	v_div_fmas_f32 v1, v1, v11, v12
	v_div_fixup_f32 v9, v1, v41, 1.0
	v_pk_add_f32 v[6:7], v[6:7], 1.0 op_sel_hi:[1,0]
	v_fma_f32 v1, -v8, v13, 1.0
	v_fmac_f32_e32 v13, v1, v13
	v_div_scale_f32 v1, vcc, 1.0, v40, 1.0
	v_mul_f32_e32 v11, v1, v13
	v_fma_f32 v12, -v8, v11, v1
	v_fmac_f32_e32 v11, v12, v13
	v_div_scale_f32 v12, s[6:7], v7, v7, 1.0
	v_mfma_f32_32x32x2f32 v[16:31], v2, v56, v[16:31]
	v_rcp_f32_e32 v2, v12
	v_fma_f32 v1, -v8, v11, v1
	v_div_fmas_f32 v1, v1, v13, v11
	v_div_fixup_f32 v8, v1, v40, 1.0
	v_fma_f32 v1, -v12, v2, 1.0
	v_fmac_f32_e32 v2, v1, v2
	v_div_scale_f32 v1, vcc, 1.0, v7, 1.0
	v_mul_f32_e32 v11, v1, v2
	v_fma_f32 v13, -v12, v11, v1
	v_fmac_f32_e32 v11, v13, v2
	v_fma_f32 v1, -v12, v11, v1
	v_div_scale_f32 v12, s[6:7], v6, v6, 1.0
	v_rcp_f32_e32 v13, v12
	v_mfma_f32_32x32x2f32 v[16:31], v3, v57, v[16:31]
	v_div_fmas_f32 v1, v1, v2, v11
	v_div_fixup_f32 v3, v1, v7, 1.0
	v_fma_f32 v1, -v12, v13, 1.0
	v_fmac_f32_e32 v13, v1, v13
	v_div_scale_f32 v1, vcc, 1.0, v6, 1.0
	v_mul_f32_e32 v2, v1, v13
	v_fma_f32 v7, -v12, v2, v1
	v_fmac_f32_e32 v2, v7, v13
	v_fma_f32 v1, -v12, v2, v1
	v_div_fmas_f32 v1, v1, v13, v2
	v_div_fixup_f32 v2, v1, v6, 1.0
	v_pk_mul_f32 v[8:9], v[34:35], v[8:9]
	v_pk_mul_f32 v[6:7], v[32:33], v[2:3]
	s_lshl_b32 s6, s20, 2
	s_mov_b32 s7, s3
	v_lshlrev_b32_e32 v1, 2, v10
	v_add_u32_e32 v44, s17, v0
	buffer_store_dwordx4 v[6:9], v1, s[4:7], 0 offen
	v_add_u32_e32 v45, s16, v14
	v_lshlrev_b32_e32 v0, 2, v44
	v_mfma_f32_32x32x2f32 v[16:31], v4, v58, v[16:31]
	buffer_load_dwordx4 v[0:3], v0, s[8:11], 0 offen
	v_lshlrev_b32_e32 v4, 2, v45
	buffer_load_dwordx4 v[6:9], v4, s[0:3], 0 offen
	s_waitcnt vmcnt(1)
	v_pk_add_f32 v[2:3], v[148:149], v[2:3]
	v_pk_add_f32 v[0:1], v[146:147], v[0:1]
	s_waitcnt vmcnt(0)
	v_pk_add_f32 v[32:33], v[2:3], v[8:9]
	v_pk_add_f32 v[40:41], v[0:1], v[6:7]
	v_pk_mul_f32 v[0:1], v[32:33], s[12:13] op_sel_hi:[1,0]
	v_pk_fma_f32 v[0:1], v[32:33], v[0:1], s[14:15] op_sel_hi:[1,1,0] neg_lo:[1,0,0] neg_hi:[1,0,0]
	v_pk_mul_f32 v[34:35], v[32:33], v[0:1]
	v_mul_f32_e32 v0, 0x3fb8aa3b, v35
	v_fma_f32 v1, v35, s15, -v0
	v_rndne_f32_e32 v4, v0
	v_fmac_f32_e32 v1, 0x32a5705f, v35
	v_sub_f32_e32 v0, v0, v4
	v_pk_mul_f32 v[2:3], v[40:41], s[12:13] op_sel_hi:[1,0]
	v_add_f32_e32 v0, v0, v1
	v_exp_f32_e32 v46, v0
	v_pk_fma_f32 v[0:1], v[40:41], v[2:3], s[14:15] op_sel_hi:[1,1,0] neg_lo:[1,0,0] neg_hi:[1,0,0]
	v_mfma_f32_32x32x2f32 v[16:31], v5, v59, v[16:31]
	v_cvt_i32_f32_e32 v47, v4
	v_pk_mul_f32 v[42:43], v[40:41], v[0:1]
	v_cmp_ngt_f32_e32 vcc, s19, v35
	v_ldexp_f32 v46, v46, v47
	v_mul_f32_e32 v47, 0x3fb8aa3b, v34
	v_rndne_f32_e32 v146, v47
	v_cndmask_b32_e32 v46, 0, v46, vcc
	v_cmp_nlt_f32_e32 vcc, s13, v35
	v_cndmask_b32_e32 v35, v36, v46, vcc
	v_cmp_ngt_f32_e32 vcc, s19, v34
	v_mfma_f32_32x32x2f32 v[0:15], v116, v140, 0
	v_fma_f32 v140, v34, s15, -v47
	v_fmac_f32_e32 v140, 0x32a5705f, v34
	v_sub_f32_e32 v47, v47, v146
	v_add_f32_e32 v47, v47, v140
	v_exp_f32_e32 v47, v47
	v_cvt_i32_f32_e32 v140, v146
	v_ldexp_f32 v46, v47, v140
	v_mul_f32_e32 v47, 0x3fb8aa3b, v43
	v_fma_f32 v140, v43, s15, -v47
	v_fmac_f32_e32 v140, 0x32a5705f, v43
	v_cndmask_b32_e32 v46, 0, v46, vcc
	v_cmp_nlt_f32_e32 vcc, s13, v34
	v_mfma_f32_32x32x2f32 v[0:15], v117, v141, v[0:15]
	v_rndne_f32_e32 v141, v47
	v_sub_f32_e32 v47, v47, v141
	v_add_f32_e32 v47, v47, v140
	v_exp_f32_e32 v47, v47
	v_cvt_i32_f32_e32 v140, v141
	v_cndmask_b32_e32 v34, v36, v46, vcc
	v_cmp_ngt_f32_e32 vcc, s19, v43
	v_pk_add_f32 v[34:35], v[34:35], 1.0 op_sel_hi:[1,0]
	v_ldexp_f32 v46, v47, v140
	v_mul_f32_e32 v47, 0x3fb8aa3b, v42
	v_fma_f32 v140, v42, s15, -v47
	v_rndne_f32_e32 v141, v47
	v_fmac_f32_e32 v140, 0x32a5705f, v42
	v_sub_f32_e32 v47, v47, v141
	v_add_f32_e32 v47, v47, v140
	v_mfma_f32_32x32x2f32 v[0:15], v118, v142, v[0:15]
	v_exp_f32_e32 v47, v47
	v_cvt_i32_f32_e32 v140, v141
	v_cndmask_b32_e32 v46, 0, v46, vcc
	v_cmp_nlt_f32_e32 vcc, s13, v43
	v_cndmask_b32_e32 v43, v36, v46, vcc
	v_ldexp_f32 v46, v47, v140
	v_div_scale_f32 v47, s[20:21], v35, v35, 1.0
	v_rcp_f32_e32 v140, v47
	v_cmp_ngt_f32_e32 vcc, s19, v42
	v_cndmask_b32_e32 v46, 0, v46, vcc
	v_cmp_nlt_f32_e32 vcc, s13, v42
	v_cndmask_b32_e32 v42, v36, v46, vcc
	v_fma_f32 v46, -v47, v140, 1.0
	v_fmac_f32_e32 v140, v46, v140
	v_mfma_f32_32x32x2f32 v[0:15], v119, v143, v[0:15]
	v_div_scale_f32 v46, vcc, 1.0, v35, 1.0
	v_mul_f32_e32 v141, v46, v140
	v_fma_f32 v142, -v47, v141, v46
	v_fmac_f32_e32 v141, v142, v140
	v_fma_f32 v46, -v47, v141, v46
	v_div_scale_f32 v47, s[20:21], v34, v34, 1.0
	v_rcp_f32_e32 v142, v47
	v_div_fmas_f32 v46, v46, v140, v141
	v_div_fixup_f32 v35, v46, v35, 1.0
	v_pk_add_f32 v[42:43], v[42:43], 1.0 op_sel_hi:[1,0]
	v_fma_f32 v46, -v47, v142, 1.0
	v_fmac_f32_e32 v142, v46, v142
	v_div_scale_f32 v46, vcc, 1.0, v34, 1.0
	v_mfma_f32_32x32x2f32 v[0:15], v108, v136, v[0:15]
	v_mul_f32_e32 v136, v46, v142
	v_fma_f32 v140, -v47, v136, v46
	v_fmac_f32_e32 v136, v140, v142
	v_fma_f32 v46, -v47, v136, v46
	v_div_scale_f32 v47, s[20:21], v43, v43, 1.0
	v_rcp_f32_e32 v140, v47
	v_div_fmas_f32 v46, v46, v142, v136
	v_div_fixup_f32 v34, v46, v34, 1.0
	v_pk_mul_f32 v[34:35], v[32:33], v[34:35]
	v_fma_f32 v46, -v47, v140, 1.0
	v_fmac_f32_e32 v140, v46, v140
	v_div_scale_f32 v46, vcc, 1.0, v43, 1.0
	v_mul_f32_e32 v136, v46, v140
	v_mfma_f32_32x32x2f32 v[0:15], v109, v137, v[0:15]
	v_fma_f32 v137, -v47, v136, v46
	v_fmac_f32_e32 v136, v137, v140
	v_fma_f32 v46, -v47, v136, v46
	v_div_scale_f32 v47, s[20:21], v42, v42, 1.0
	v_rcp_f32_e32 v137, v47
	v_div_fmas_f32 v46, v46, v140, v136
	v_div_fixup_f32 v43, v46, v43, 1.0
	v_add_u32_e32 v140, s17, v44
	v_fma_f32 v46, -v47, v137, 1.0
	v_fmac_f32_e32 v137, v46, v137
	v_div_scale_f32 v46, vcc, 1.0, v42, 1.0
	v_mul_f32_e32 v136, v46, v137
	v_add_u32_e32 v141, s16, v45
	v_mfma_f32_32x32x2f32 v[0:15], v110, v138, v[0:15]
	v_fma_f32 v138, -v47, v136, v46
	v_fmac_f32_e32 v136, v138, v137
	v_fma_f32 v46, -v47, v136, v46
	v_div_fmas_f32 v46, v46, v137, v136
	v_div_fixup_f32 v42, v46, v42, 1.0
	v_pk_mul_f32 v[32:33], v[40:41], v[42:43]
	v_lshlrev_b32_e32 v40, 2, v150
	buffer_store_dwordx4 v[32:35], v40, s[4:7], 0 offen
	v_lshlrev_b32_e32 v40, 2, v141
	v_lshlrev_b32_e32 v32, 2, v140
	buffer_load_dwordx4 v[32:35], v32, s[8:11], 0 offen
	ds_read_b128 v[44:47], v37 offset:256
	buffer_load_dwordx4 v[40:43], v40, s[0:3], 0 offen
	v_add_u32_e32 v142, s18, v150
	v_mfma_f32_32x32x2f32 v[0:15], v111, v139, v[0:15]
	ds_read_b128 v[136:139], v37 offset:384
	s_waitcnt vmcnt(1) lgkmcnt(1)
	v_pk_add_f32 v[34:35], v[46:47], v[34:35]
	v_mfma_f32_32x32x2f32 v[0:15], v96, v132, v[0:15]
	v_pk_add_f32 v[32:33], v[44:45], v[32:33]
	s_waitcnt vmcnt(0)
	v_pk_add_f32 v[34:35], v[34:35], v[42:43]
	v_pk_add_f32 v[32:33], v[32:33], v[40:41]
	v_pk_mul_f32 v[40:41], v[34:35], s[12:13] op_sel_hi:[1,0]
	v_pk_fma_f32 v[40:41], v[34:35], v[40:41], s[14:15] op_sel_hi:[1,1,0] neg_lo:[1,0,0] neg_hi:[1,0,0]
	v_pk_mul_f32 v[40:41], v[34:35], v[40:41]
	v_mul_f32_e32 v42, 0x3fb8aa3b, v41
	v_fma_f32 v43, v41, s15, -v42
	v_rndne_f32_e32 v44, v42
	v_fmac_f32_e32 v43, 0x32a5705f, v41
	v_sub_f32_e32 v42, v42, v44
	v_add_f32_e32 v42, v42, v43
	v_exp_f32_e32 v45, v42
	v_cvt_i32_f32_e32 v44, v44
	v_pk_mul_f32 v[42:43], v[32:33], s[12:13] op_sel_hi:[1,0]
	v_mfma_f32_32x32x2f32 v[0:15], v97, v133, v[0:15]
	v_pk_fma_f32 v[42:43], v[32:33], v[42:43], s[14:15] op_sel_hi:[1,1,0] neg_lo:[1,0,0] neg_hi:[1,0,0]
	v_ldexp_f32 v44, v45, v44
	v_mul_f32_e32 v45, 0x3fb8aa3b, v40
	v_fma_f32 v46, v40, s15, -v45
	v_rndne_f32_e32 v47, v45
	v_fmac_f32_e32 v46, 0x32a5705f, v40
	v_sub_f32_e32 v45, v45, v47
	v_add_f32_e32 v45, v45, v46
	v_exp_f32_e32 v45, v45
	v_cvt_i32_f32_e32 v46, v47
	v_cmp_ngt_f32_e32 vcc, s19, v41
	v_pk_mul_f32 v[42:43], v[32:33], v[42:43]
	v_cndmask_b32_e32 v44, 0, v44, vcc
	v_cmp_nlt_f32_e32 vcc, s13, v41
	v_cndmask_b32_e32 v41, v36, v44, vcc
	v_mfma_f32_32x32x2f32 v[0:15], v98, v134, v[0:15]
	v_ldexp_f32 v44, v45, v46
	v_mul_f32_e32 v45, 0x3fb8aa3b, v43
	v_fma_f32 v46, v43, s15, -v45
	v_rndne_f32_e32 v47, v45
	v_fmac_f32_e32 v46, 0x32a5705f, v43
	v_sub_f32_e32 v45, v45, v47
	v_add_f32_e32 v45, v45, v46
	v_exp_f32_e32 v45, v45
	v_cvt_i32_f32_e32 v46, v47
	v_cmp_ngt_f32_e32 vcc, s19, v40
	v_cndmask_b32_e32 v44, 0, v44, vcc
	v_cmp_nlt_f32_e32 vcc, s13, v40
	v_cndmask_b32_e32 v40, v36, v44, vcc
	v_ldexp_f32 v44, v45, v46
	v_mul_f32_e32 v45, 0x3fb8aa3b, v42
	v_mfma_f32_32x32x2f32 v[0:15], v99, v135, v[0:15]
	v_fma_f32 v46, v42, s15, -v45
	v_rndne_f32_e32 v47, v45
	v_fmac_f32_e32 v46, 0x32a5705f, v42
	v_sub_f32_e32 v45, v45, v47
	v_add_f32_e32 v45, v45, v46
	v_exp_f32_e32 v45, v45
	v_cvt_i32_f32_e32 v46, v47
	v_cmp_ngt_f32_e32 vcc, s19, v43
	v_cndmask_b32_e32 v44, 0, v44, vcc
	v_cmp_nlt_f32_e32 vcc, s13, v43
	v_pk_add_f32 v[40:41], v[40:41], 1.0 op_sel_hi:[1,0]
	v_cndmask_b32_e32 v43, v36, v44, vcc
	v_ldexp_f32 v44, v45, v46
	v_div_scale_f32 v45, s[20:21], v41, v41, 1.0
	v_rcp_f32_e32 v46, v45
	v_cmp_ngt_f32_e32 vcc, s19, v42
	v_cndmask_b32_e32 v44, 0, v44, vcc
	v_cmp_nlt_f32_e32 vcc, s13, v42
	v_cndmask_b32_e32 v42, v36, v44, vcc
	v_fma_f32 v44, -v45, v46, 1.0
	v_fmac_f32_e32 v46, v44, v46
	v_div_scale_f32 v44, vcc, 1.0, v41, 1.0
	v_mul_f32_e32 v47, v44, v46
	v_mfma_f32_32x32x2f32 v[0:15], v88, v128, v[0:15]
	v_fma_f32 v128, -v45, v47, v44
	v_fmac_f32_e32 v47, v128, v46
	v_fma_f32 v44, -v45, v47, v44
	v_div_scale_f32 v45, s[20:21], v40, v40, 1.0
	v_rcp_f32_e32 v128, v45
	v_div_fmas_f32 v44, v44, v46, v47
	v_div_fixup_f32 v41, v44, v41, 1.0
	v_pk_add_f32 v[42:43], v[42:43], 1.0 op_sel_hi:[1,0]
	v_fma_f32 v44, -v45, v128, 1.0
	v_fmac_f32_e32 v128, v44, v128
	v_div_scale_f32 v44, vcc, 1.0, v40, 1.0
	v_mul_f32_e32 v46, v44, v128
	v_fma_f32 v47, -v45, v46, v44
	v_fmac_f32_e32 v46, v47, v128
	v_fma_f32 v44, -v45, v46, v44
	v_div_scale_f32 v45, s[20:21], v43, v43, 1.0
	v_rcp_f32_e32 v47, v45
	v_div_fmas_f32 v44, v44, v128, v46
	v_div_fixup_f32 v40, v44, v40, 1.0
	v_mfma_f32_32x32x2f32 v[0:15], v89, v129, v[0:15]
	v_fma_f32 v44, -v45, v47, 1.0
	v_fmac_f32_e32 v47, v44, v47
	v_div_scale_f32 v44, vcc, 1.0, v43, 1.0
	v_mul_f32_e32 v46, v44, v47
	v_fma_f32 v128, -v45, v46, v44
	v_fmac_f32_e32 v46, v128, v47
	v_fma_f32 v44, -v45, v46, v44
	v_div_scale_f32 v45, s[20:21], v42, v42, 1.0
	v_rcp_f32_e32 v128, v45
	v_div_fmas_f32 v44, v44, v47, v46
	v_div_fixup_f32 v43, v44, v43, 1.0
	v_pk_mul_f32 v[34:35], v[34:35], v[40:41]
	v_fma_f32 v44, -v45, v128, 1.0
	v_fmac_f32_e32 v128, v44, v128
	v_div_scale_f32 v44, vcc, 1.0, v42, 1.0
	v_mul_f32_e32 v46, v44, v128
	v_fma_f32 v47, -v45, v46, v44
	v_fmac_f32_e32 v46, v47, v128
	v_fma_f32 v44, -v45, v46, v44
	v_div_fmas_f32 v44, v44, v128, v46
	v_div_fixup_f32 v42, v44, v42, 1.0
	v_pk_mul_f32 v[32:33], v[32:33], v[42:43]
	v_lshlrev_b32_e32 v40, 2, v142
	v_add_u32_e32 v44, s17, v140
	v_mfma_f32_32x32x2f32 v[0:15], v90, v130, v[0:15]
	buffer_store_dwordx4 v[32:35], v40, s[4:7], 0 offen
	v_add_u32_e32 v45, s16, v141
	v_lshlrev_b32_e32 v32, 2, v44
	buffer_load_dwordx4 v[32:35], v32, s[8:11], 0 offen
	v_lshlrev_b32_e32 v40, 2, v45
	buffer_load_dwordx4 v[40:43], v40, s[0:3], 0 offen
	v_add_u32_e32 v46, s18, v142
	s_waitcnt vmcnt(1) lgkmcnt(0)
	v_pk_add_f32 v[34:35], v[138:139], v[34:35]
	v_mfma_f32_32x32x2f32 v[0:15], v91, v131, v[0:15]
	v_pk_add_f32 v[32:33], v[136:137], v[32:33]
	s_waitcnt vmcnt(0)
	v_pk_add_f32 v[34:35], v[34:35], v[42:43]
	v_pk_add_f32 v[32:33], v[32:33], v[40:41]
	v_pk_mul_f32 v[40:41], v[34:35], s[12:13] op_sel_hi:[1,0]
	v_pk_fma_f32 v[40:41], v[34:35], v[40:41], s[14:15] op_sel_hi:[1,1,0] neg_lo:[1,0,0] neg_hi:[1,0,0]
	v_pk_mul_f32 v[40:41], v[34:35], v[40:41]
	v_mul_f32_e32 v42, 0x3fb8aa3b, v41
	v_fma_f32 v43, v41, s15, -v42
	v_rndne_f32_e32 v47, v42
	v_fmac_f32_e32 v43, 0x32a5705f, v41
	v_sub_f32_e32 v42, v42, v47
	v_add_f32_e32 v42, v42, v43
	v_cvt_i32_f32_e32 v47, v47
	v_cmp_ngt_f32_e32 vcc, s19, v41
	v_mfma_f32_32x32x2f32 v[0:15], v80, v124, v[0:15]
	v_exp_f32_e32 v124, v42
	v_pk_mul_f32 v[42:43], v[32:33], s[12:13] op_sel_hi:[1,0]
	v_pk_fma_f32 v[42:43], v[32:33], v[42:43], s[14:15] op_sel_hi:[1,1,0] neg_lo:[1,0,0] neg_hi:[1,0,0]
	v_pk_mul_f32 v[42:43], v[32:33], v[42:43]
	v_ldexp_f32 v47, v124, v47
	v_mul_f32_e32 v124, 0x3fb8aa3b, v40
	v_rndne_f32_e32 v128, v124
	v_cndmask_b32_e32 v47, 0, v47, vcc
	v_cmp_nlt_f32_e32 vcc, s13, v41
	v_cndmask_b32_e32 v41, v36, v47, vcc
	v_cmp_ngt_f32_e32 vcc, s19, v40
	v_mfma_f32_32x32x2f32 v[0:15], v81, v125, v[0:15]
	v_fma_f32 v125, v40, s15, -v124
	v_fmac_f32_e32 v125, 0x32a5705f, v40
	v_sub_f32_e32 v124, v124, v128
	v_add_f32_e32 v124, v124, v125
	v_exp_f32_e32 v124, v124
	v_cvt_i32_f32_e32 v125, v128
	v_ldexp_f32 v47, v124, v125
	v_mul_f32_e32 v124, 0x3fb8aa3b, v43
	v_fma_f32 v125, v43, s15, -v124
	v_fmac_f32_e32 v125, 0x32a5705f, v43
	v_cndmask_b32_e32 v47, 0, v47, vcc
	v_cmp_nlt_f32_e32 vcc, s13, v40
	v_mfma_f32_32x32x2f32 v[0:15], v82, v126, v[0:15]
	v_rndne_f32_e32 v126, v124
	v_sub_f32_e32 v124, v124, v126
	v_add_f32_e32 v124, v124, v125
	v_exp_f32_e32 v124, v124
	v_cvt_i32_f32_e32 v125, v126
	v_cndmask_b32_e32 v40, v36, v47, vcc
	v_cmp_ngt_f32_e32 vcc, s19, v43
	v_pk_add_f32 v[40:41], v[40:41], 1.0 op_sel_hi:[1,0]
	v_ldexp_f32 v47, v124, v125
	v_mul_f32_e32 v124, 0x3fb8aa3b, v42
	v_fma_f32 v125, v42, s15, -v124
	v_rndne_f32_e32 v126, v124
	v_fmac_f32_e32 v125, 0x32a5705f, v42
	v_sub_f32_e32 v124, v124, v126
	v_add_f32_e32 v124, v124, v125
	v_mfma_f32_32x32x2f32 v[0:15], v83, v127, v[0:15]
	v_exp_f32_e32 v124, v124
	v_cvt_i32_f32_e32 v125, v126
	v_cndmask_b32_e32 v47, 0, v47, vcc
	v_cmp_nlt_f32_e32 vcc, s13, v43
	v_cndmask_b32_e32 v43, v36, v47, vcc
	v_ldexp_f32 v47, v124, v125
	v_cmp_ngt_f32_e32 vcc, s19, v42
	v_cndmask_b32_e32 v47, 0, v47, vcc
	v_cmp_nlt_f32_e32 vcc, s13, v42
	v_cndmask_b32_e32 v42, v36, v47, vcc
	v_pk_add_f32 v[42:43], v[42:43], 1.0 op_sel_hi:[1,0]
	v_mfma_f32_32x32x2f32 v[0:15], v72, v120, v[0:15]
	v_div_scale_f32 v120, s[20:21], v41, v41, 1.0
	v_rcp_f32_e32 v124, v120
	v_fma_f32 v47, -v120, v124, 1.0
	v_fmac_f32_e32 v124, v47, v124
	v_div_scale_f32 v47, vcc, 1.0, v41, 1.0
	v_mfma_f32_32x32x2f32 v[0:15], v73, v121, v[0:15]
	v_mul_f32_e32 v121, v47, v124
	v_fma_f32 v125, -v120, v121, v47
	v_fmac_f32_e32 v121, v125, v124
	v_fma_f32 v47, -v120, v121, v47
	v_div_scale_f32 v120, s[20:21], v40, v40, 1.0
	v_rcp_f32_e32 v125, v120
	v_div_fmas_f32 v47, v47, v124, v121
	v_div_fixup_f32 v41, v47, v41, 1.0
	v_fma_f32 v47, -v120, v125, 1.0
	v_fmac_f32_e32 v125, v47, v125
	v_div_scale_f32 v47, vcc, 1.0, v40, 1.0
	v_mul_f32_e32 v121, v47, v125
	v_mfma_f32_32x32x2f32 v[0:15], v74, v122, v[0:15]
	v_fma_f32 v122, -v120, v121, v47
	v_fmac_f32_e32 v121, v122, v125
	v_fma_f32 v47, -v120, v121, v47
	v_div_scale_f32 v120, s[20:21], v43, v43, 1.0
	v_rcp_f32_e32 v122, v120
	v_div_fmas_f32 v47, v47, v125, v121
	v_div_fixup_f32 v40, v47, v40, 1.0
	v_pk_mul_f32 v[34:35], v[34:35], v[40:41]
	v_fma_f32 v47, -v120, v122, 1.0
	v_fmac_f32_e32 v122, v47, v122
	v_div_scale_f32 v47, vcc, 1.0, v43, 1.0
	v_mul_f32_e32 v121, v47, v122
	v_lshlrev_b32_e32 v40, 2, v46
	v_mfma_f32_32x32x2f32 v[0:15], v75, v123, v[0:15]
	v_fma_f32 v123, -v120, v121, v47
	v_fmac_f32_e32 v121, v123, v122
	v_fma_f32 v47, -v120, v121, v47
	v_div_scale_f32 v120, s[20:21], v42, v42, 1.0
	v_rcp_f32_e32 v123, v120
	v_div_fmas_f32 v47, v47, v122, v121
	v_div_fixup_f32 v43, v47, v43, 1.0
	s_mul_i32 s20, s17, -3
	v_fma_f32 v47, -v120, v123, 1.0
	v_fmac_f32_e32 v123, v47, v123
	v_div_scale_f32 v47, vcc, 1.0, v42, 1.0
	v_mul_f32_e32 v121, v47, v123
	v_fma_f32 v122, -v120, v121, v47
	v_fmac_f32_e32 v121, v122, v123
	v_fma_f32 v47, -v120, v121, v47
	v_div_fmas_f32 v47, v47, v123, v121
	v_div_fixup_f32 v42, v47, v42, 1.0
	v_mfma_f32_32x32x2f32 v[0:15], v64, v112, v[0:15]
	v_pk_mul_f32 v[32:33], v[32:33], v[42:43]
	v_add3_u32 v112, s20, 32, v44
	s_mul_i32 s20, s16, -3
	buffer_store_dwordx4 v[32:35], v40, s[4:7], 0 offen
	v_add3_u32 v120, s20, 32, v45
	s_waitcnt lgkmcnt(0)
	; wave barrier
	ds_write2_b32 v144, v16, v17 offset1:32
	v_lshlrev_b32_e32 v16, 2, v112
	ds_write2_b32 v144, v18, v19 offset0:64 offset1:96
	ds_write2_b32 v145, v22, v23 offset0:64 offset1:96
	ds_write2_b32 v145, v20, v21 offset1:32
	ds_write2_b32 v38, v24, v25 offset1:32
	ds_write2_b32 v38, v26, v27 offset0:64 offset1:96
	ds_write2_b32 v39, v30, v31 offset0:64 offset1:96
	ds_write2_b32 v39, v28, v29 offset1:32
	s_waitcnt lgkmcnt(0)
	; wave barrier
	buffer_load_dwordx4 v[16:19], v16, s[8:11], 0 offen
	v_lshlrev_b32_e32 v20, 2, v120
	buffer_load_dwordx4 v[20:23], v20, s[0:3], 0 offen
	ds_read_b128 v[24:27], v37
	ds_read_b128 v[32:35], v37 offset:128
	v_mfma_f32_32x32x2f32 v[0:15], v65, v113, v[0:15]
	s_mul_i32 s20, s18, -3
	v_add3_u32 v113, s20, 32, v46
	s_waitcnt vmcnt(1) lgkmcnt(1)
	v_pk_add_f32 v[18:19], v[26:27], v[18:19]
	v_mfma_f32_32x32x2f32 v[0:15], v66, v114, v[0:15]
	v_pk_add_f32 v[16:17], v[24:25], v[16:17]
	s_waitcnt vmcnt(0)
	v_pk_add_f32 v[40:41], v[18:19], v[22:23]
	v_pk_add_f32 v[44:45], v[16:17], v[20:21]
	v_pk_mul_f32 v[16:17], v[40:41], s[12:13] op_sel_hi:[1,0]
	v_pk_fma_f32 v[16:17], v[40:41], v[16:17], s[14:15] op_sel_hi:[1,1,0] neg_lo:[1,0,0] neg_hi:[1,0,0]
	v_pk_mul_f32 v[42:43], v[40:41], v[16:17]
	v_mul_f32_e32 v16, 0x3fb8aa3b, v43
	v_fma_f32 v17, v43, s15, -v16
	v_rndne_f32_e32 v18, v16
	v_fmac_f32_e32 v17, 0x32a5705f, v43
	v_sub_f32_e32 v16, v16, v18
	v_add_f32_e32 v16, v16, v17
	v_exp_f32_e32 v19, v16
	v_cvt_i32_f32_e32 v18, v18
	v_pk_mul_f32 v[16:17], v[44:45], s[12:13] op_sel_hi:[1,0]
	v_pk_fma_f32 v[16:17], v[44:45], v[16:17], s[14:15] op_sel_hi:[1,1,0] neg_lo:[1,0,0] neg_hi:[1,0,0]
	v_pk_mul_f32 v[46:47], v[44:45], v[16:17]
	v_mul_f32_e32 v16, 0x3fb8aa3b, v42
	v_ldexp_f32 v114, v19, v18
	v_fma_f32 v17, v42, s15, -v16
	v_rndne_f32_e32 v18, v16
	v_fmac_f32_e32 v17, 0x32a5705f, v42
	v_sub_f32_e32 v16, v16, v18
	v_add_f32_e32 v16, v16, v17
	v_mfma_f32_32x32x2f32 v[0:15], v67, v115, v[0:15]
	v_exp_f32_e32 v115, v16
	v_cvt_i32_f32_e32 v121, v18
	v_cmp_ngt_f32_e32 vcc, s19, v43
	v_mfma_f32_32x32x2f32 v[16:31], v116, v104, 0
	v_cndmask_b32_e32 v104, 0, v114, vcc
	v_cmp_nlt_f32_e32 vcc, s13, v43
	v_mul_f32_e32 v114, 0x3fb8aa3b, v47
	v_cndmask_b32_e32 v43, v36, v104, vcc
	v_ldexp_f32 v104, v115, v121
	v_fma_f32 v115, v47, s15, -v114
	v_rndne_f32_e32 v116, v114
	v_fmac_f32_e32 v115, 0x32a5705f, v47
	v_sub_f32_e32 v114, v114, v116
	v_add_f32_e32 v114, v114, v115
	v_exp_f32_e32 v114, v114
	v_cvt_i32_f32_e32 v115, v116
	v_cmp_ngt_f32_e32 vcc, s19, v42
	v_cndmask_b32_e32 v104, 0, v104, vcc
	v_cmp_nlt_f32_e32 vcc, s13, v42
	v_mfma_f32_32x32x2f32 v[16:31], v117, v105, v[16:31]
	v_mul_f32_e32 v105, 0x3fb8aa3b, v46
	v_cndmask_b32_e32 v42, v36, v104, vcc
	v_ldexp_f32 v104, v114, v115
	v_fma_f32 v114, v46, s15, -v105
	v_rndne_f32_e32 v115, v105
	v_fmac_f32_e32 v114, 0x32a5705f, v46
	v_sub_f32_e32 v105, v105, v115
	v_add_f32_e32 v105, v105, v114
	v_exp_f32_e32 v105, v105
	v_cvt_i32_f32_e32 v114, v115
	v_cmp_ngt_f32_e32 vcc, s19, v47
	v_cndmask_b32_e32 v104, 0, v104, vcc
	v_cmp_nlt_f32_e32 vcc, s13, v47
	v_pk_add_f32 v[42:43], v[42:43], 1.0 op_sel_hi:[1,0]
	v_cndmask_b32_e32 v47, v36, v104, vcc
	v_mfma_f32_32x32x2f32 v[16:31], v118, v106, v[16:31]
	v_ldexp_f32 v104, v105, v114
	v_div_scale_f32 v105, s[20:21], v43, v43, 1.0
	v_rcp_f32_e32 v106, v105
	v_cmp_ngt_f32_e32 vcc, s19, v46
	v_cndmask_b32_e32 v104, 0, v104, vcc
	v_cmp_nlt_f32_e32 vcc, s13, v46
	v_cndmask_b32_e32 v46, v36, v104, vcc
	v_fma_f32 v104, -v105, v106, 1.0
	v_fmac_f32_e32 v106, v104, v106
	v_div_scale_f32 v104, vcc, 1.0, v43, 1.0
	v_mul_f32_e32 v114, v104, v106
	v_fma_f32 v115, -v105, v114, v104
	v_fmac_f32_e32 v114, v115, v106
	v_mfma_f32_32x32x2f32 v[16:31], v119, v107, v[16:31]
	v_fma_f32 v104, -v105, v114, v104
	v_div_scale_f32 v105, s[20:21], v42, v42, 1.0
	v_rcp_f32_e32 v107, v105
	v_div_fmas_f32 v104, v104, v106, v114
	v_div_fixup_f32 v43, v104, v43, 1.0
	v_pk_add_f32 v[46:47], v[46:47], 1.0 op_sel_hi:[1,0]
	v_fma_f32 v104, -v105, v107, 1.0
	v_fmac_f32_e32 v107, v104, v107
	v_div_scale_f32 v104, vcc, 1.0, v42, 1.0
	v_mul_f32_e32 v106, v104, v107
	v_fma_f32 v114, -v105, v106, v104
	v_fmac_f32_e32 v106, v114, v107
	v_mfma_f32_32x32x2f32 v[16:31], v108, v100, v[16:31]
	v_fma_f32 v100, -v105, v106, v104
	v_div_scale_f32 v104, s[20:21], v47, v47, 1.0
	v_rcp_f32_e32 v105, v104
	v_div_fmas_f32 v100, v100, v107, v106
	v_div_fixup_f32 v42, v100, v42, 1.0
	v_pk_mul_f32 v[42:43], v[40:41], v[42:43]
	v_fma_f32 v100, -v104, v105, 1.0
	v_fmac_f32_e32 v105, v100, v105
	v_div_scale_f32 v100, vcc, 1.0, v47, 1.0
	v_mul_f32_e32 v106, v100, v105
	v_fma_f32 v107, -v104, v106, v100
	v_fmac_f32_e32 v106, v107, v105
	v_fma_f32 v100, -v104, v106, v100
	v_mfma_f32_32x32x2f32 v[16:31], v109, v101, v[16:31]
	v_div_scale_f32 v101, s[20:21], v46, v46, 1.0
	v_rcp_f32_e32 v104, v101
	v_div_fmas_f32 v100, v100, v105, v106
	v_div_fixup_f32 v47, v100, v47, 1.0
	v_fma_f32 v100, -v101, v104, 1.0
	v_fmac_f32_e32 v104, v100, v104
	v_div_scale_f32 v100, vcc, 1.0, v46, 1.0
	v_mul_f32_e32 v105, v100, v104
	v_fma_f32 v106, -v101, v105, v100
	v_fmac_f32_e32 v105, v106, v104
	v_fma_f32 v100, -v101, v105, v100
	v_div_fmas_f32 v100, v100, v104, v105
	v_div_fixup_f32 v46, v100, v46, 1.0
	v_pk_mul_f32 v[40:41], v[44:45], v[46:47]
	v_lshlrev_b32_e32 v44, 2, v113
	v_add_u32_e32 v100, s17, v112
	buffer_store_dwordx4 v[40:43], v44, s[4:7], 0 offen
	v_add_u32_e32 v101, s16, v120
	v_lshlrev_b32_e32 v40, 2, v100
	buffer_load_dwordx4 v[40:43], v40, s[8:11], 0 offen
	v_lshlrev_b32_e32 v44, 2, v101
	buffer_load_dwordx4 v[44:47], v44, s[0:3], 0 offen
	v_mfma_f32_32x32x2f32 v[16:31], v110, v102, v[16:31]
	v_add_u32_e32 v102, s18, v113
	s_waitcnt vmcnt(1) lgkmcnt(0)
	v_pk_add_f32 v[34:35], v[34:35], v[42:43]
	v_mfma_f32_32x32x2f32 v[16:31], v111, v103, v[16:31]
	s_waitcnt vmcnt(0)
	v_pk_add_f32 v[34:35], v[34:35], v[46:47]
	v_pk_add_f32 v[32:33], v[32:33], v[40:41]
	v_pk_mul_f32 v[40:41], v[34:35], s[12:13] op_sel_hi:[1,0]
	v_pk_fma_f32 v[40:41], v[34:35], v[40:41], s[14:15] op_sel_hi:[1,1,0] neg_lo:[1,0,0] neg_hi:[1,0,0]
	v_pk_mul_f32 v[40:41], v[34:35], v[40:41]
	v_pk_add_f32 v[32:33], v[32:33], v[44:45]
	v_mul_f32_e32 v44, 0x3fb8aa3b, v41
	v_fma_f32 v45, v41, s15, -v44
	v_rndne_f32_e32 v46, v44
	v_fmac_f32_e32 v45, 0x32a5705f, v41
	v_sub_f32_e32 v44, v44, v46
	v_add_f32_e32 v44, v44, v45
	v_exp_f32_e32 v44, v44
	v_cvt_i32_f32_e32 v45, v46
	v_pk_mul_f32 v[42:43], v[32:33], s[12:13] op_sel_hi:[1,0]
	v_mfma_f32_32x32x2f32 v[16:31], v96, v92, v[16:31]
	v_pk_fma_f32 v[42:43], v[32:33], v[42:43], s[14:15] op_sel_hi:[1,1,0] neg_lo:[1,0,0] neg_hi:[1,0,0]
	v_ldexp_f32 v44, v44, v45
	v_mul_f32_e32 v45, 0x3fb8aa3b, v40
	v_fma_f32 v46, v40, s15, -v45
	v_rndne_f32_e32 v47, v45
	v_fmac_f32_e32 v46, 0x32a5705f, v40
	v_sub_f32_e32 v45, v45, v47
	v_add_f32_e32 v45, v45, v46
	v_exp_f32_e32 v45, v45
	v_cvt_i32_f32_e32 v46, v47
	v_cmp_ngt_f32_e32 vcc, s19, v41
	v_pk_mul_f32 v[42:43], v[32:33], v[42:43]
	v_cndmask_b32_e32 v44, 0, v44, vcc
	v_cmp_nlt_f32_e32 vcc, s13, v41
	v_cndmask_b32_e32 v41, v36, v44, vcc
	v_mfma_f32_32x32x2f32 v[16:31], v97, v93, v[16:31]
	v_ldexp_f32 v44, v45, v46
	v_mul_f32_e32 v45, 0x3fb8aa3b, v43
	v_fma_f32 v46, v43, s15, -v45
	v_rndne_f32_e32 v47, v45
	v_fmac_f32_e32 v46, 0x32a5705f, v43
	v_sub_f32_e32 v45, v45, v47
	v_add_f32_e32 v45, v45, v46
	v_exp_f32_e32 v45, v45
	v_cvt_i32_f32_e32 v46, v47
	v_cmp_ngt_f32_e32 vcc, s19, v40
	v_cndmask_b32_e32 v44, 0, v44, vcc
	v_cmp_nlt_f32_e32 vcc, s13, v40
	v_cndmask_b32_e32 v40, v36, v44, vcc
	v_ldexp_f32 v44, v45, v46
	v_mul_f32_e32 v45, 0x3fb8aa3b, v42
	v_mfma_f32_32x32x2f32 v[16:31], v98, v94, v[16:31]
	v_fma_f32 v46, v42, s15, -v45
	v_rndne_f32_e32 v47, v45
	v_fmac_f32_e32 v46, 0x32a5705f, v42
	v_sub_f32_e32 v45, v45, v47
	v_add_f32_e32 v45, v45, v46
	v_exp_f32_e32 v45, v45
	v_cvt_i32_f32_e32 v46, v47
	v_cmp_ngt_f32_e32 vcc, s19, v43
	v_cndmask_b32_e32 v44, 0, v44, vcc
	v_cmp_nlt_f32_e32 vcc, s13, v43
	v_pk_add_f32 v[40:41], v[40:41], 1.0 op_sel_hi:[1,0]
	v_cndmask_b32_e32 v43, v36, v44, vcc
	v_ldexp_f32 v44, v45, v46
	v_div_scale_f32 v45, s[20:21], v41, v41, 1.0
	v_mfma_f32_32x32x2f32 v[16:31], v99, v95, v[16:31]
	v_rcp_f32_e32 v46, v45
	v_cmp_ngt_f32_e32 vcc, s19, v42
	v_cndmask_b32_e32 v44, 0, v44, vcc
	v_cmp_nlt_f32_e32 vcc, s13, v42
	v_cndmask_b32_e32 v42, v36, v44, vcc
	v_fma_f32 v44, -v45, v46, 1.0
	v_fmac_f32_e32 v46, v44, v46
	v_div_scale_f32 v44, vcc, 1.0, v41, 1.0
	v_mul_f32_e32 v47, v44, v46
	v_fma_f32 v92, -v45, v47, v44
	v_fmac_f32_e32 v47, v92, v46
	v_fma_f32 v44, -v45, v47, v44
	v_div_scale_f32 v45, s[20:21], v40, v40, 1.0
	v_mfma_f32_32x32x2f32 v[16:31], v88, v84, v[16:31]
	v_rcp_f32_e32 v84, v45
	v_div_fmas_f32 v44, v44, v46, v47
	v_div_fixup_f32 v41, v44, v41, 1.0
	v_pk_add_f32 v[42:43], v[42:43], 1.0 op_sel_hi:[1,0]
	v_fma_f32 v44, -v45, v84, 1.0
	v_fmac_f32_e32 v84, v44, v84
	v_div_scale_f32 v44, vcc, 1.0, v40, 1.0
	v_mul_f32_e32 v46, v44, v84
	v_fma_f32 v47, -v45, v46, v44
	v_fmac_f32_e32 v46, v47, v84
	v_fma_f32 v44, -v45, v46, v44
	v_div_scale_f32 v45, s[20:21], v43, v43, 1.0
	v_rcp_f32_e32 v47, v45
	v_div_fmas_f32 v44, v44, v84, v46
	v_div_fixup_f32 v40, v44, v40, 1.0
	v_pk_mul_f32 v[34:35], v[34:35], v[40:41]
	v_fma_f32 v44, -v45, v47, 1.0
	v_fmac_f32_e32 v47, v44, v47
	v_div_scale_f32 v44, vcc, 1.0, v43, 1.0
	v_mul_f32_e32 v46, v44, v47
	v_fma_f32 v84, -v45, v46, v44
	v_fmac_f32_e32 v46, v84, v47
	v_fma_f32 v44, -v45, v46, v44
	v_div_scale_f32 v45, s[20:21], v42, v42, 1.0
	v_rcp_f32_e32 v84, v45
	v_div_fmas_f32 v44, v44, v47, v46
	v_div_fixup_f32 v43, v44, v43, 1.0
	v_lshlrev_b32_e32 v40, 2, v102
	v_fma_f32 v44, -v45, v84, 1.0
	v_fmac_f32_e32 v84, v44, v84
	v_div_scale_f32 v44, vcc, 1.0, v42, 1.0
	v_mul_f32_e32 v46, v44, v84
	v_fma_f32 v47, -v45, v46, v44
	v_fmac_f32_e32 v46, v47, v84
	v_fma_f32 v44, -v45, v46, v44
	v_div_fmas_f32 v44, v44, v84, v46
	v_div_fixup_f32 v42, v44, v42, 1.0
	v_pk_mul_f32 v[32:33], v[32:33], v[42:43]
	v_add_u32_e32 v88, s17, v100
	v_mfma_f32_32x32x2f32 v[16:31], v89, v85, v[16:31]
	buffer_store_dwordx4 v[32:35], v40, s[4:7], 0 offen
	v_add_u32_e32 v89, s16, v101
	v_lshlrev_b32_e32 v32, 2, v88
	buffer_load_dwordx4 v[32:35], v32, s[8:11], 0 offen
	v_lshlrev_b32_e32 v40, 2, v89
	buffer_load_dwordx4 v[40:43], v40, s[0:3], 0 offen
	ds_read_b128 v[44:47], v37 offset:256
	v_mfma_f32_32x32x2f32 v[16:31], v90, v86, v[16:31]
	v_add_u32_e32 v90, s18, v102
	v_mfma_f32_32x32x2f32 v[16:31], v91, v87, v[16:31]
	ds_read_b128 v[84:87], v37 offset:384
	s_waitcnt vmcnt(1) lgkmcnt(1)
	v_pk_add_f32 v[34:35], v[46:47], v[34:35]
	v_mfma_f32_32x32x2f32 v[16:31], v80, v76, v[16:31]
	v_pk_add_f32 v[32:33], v[44:45], v[32:33]
	s_waitcnt vmcnt(0)
	v_pk_add_f32 v[34:35], v[34:35], v[42:43]
	v_pk_add_f32 v[32:33], v[32:33], v[40:41]
	v_pk_mul_f32 v[40:41], v[34:35], s[12:13] op_sel_hi:[1,0]
	v_pk_fma_f32 v[40:41], v[34:35], v[40:41], s[14:15] op_sel_hi:[1,1,0] neg_lo:[1,0,0] neg_hi:[1,0,0]
	v_pk_mul_f32 v[40:41], v[34:35], v[40:41]
	v_mul_f32_e32 v42, 0x3fb8aa3b, v41
	v_fma_f32 v43, v41, s15, -v42
	v_rndne_f32_e32 v44, v42
	v_fmac_f32_e32 v43, 0x32a5705f, v41
	v_sub_f32_e32 v42, v42, v44
	v_add_f32_e32 v42, v42, v43
	v_exp_f32_e32 v45, v42
	v_cvt_i32_f32_e32 v44, v44
	v_pk_mul_f32 v[42:43], v[32:33], s[12:13] op_sel_hi:[1,0]
	v_mfma_f32_32x32x2f32 v[16:31], v81, v77, v[16:31]
	v_pk_fma_f32 v[42:43], v[32:33], v[42:43], s[14:15] op_sel_hi:[1,1,0] neg_lo:[1,0,0] neg_hi:[1,0,0]
	v_ldexp_f32 v44, v45, v44
	v_mul_f32_e32 v45, 0x3fb8aa3b, v40
	v_fma_f32 v46, v40, s15, -v45
	v_rndne_f32_e32 v47, v45
	v_fmac_f32_e32 v46, 0x32a5705f, v40
	v_sub_f32_e32 v45, v45, v47
	v_add_f32_e32 v45, v45, v46
	v_exp_f32_e32 v45, v45
	v_cvt_i32_f32_e32 v46, v47
	v_cmp_ngt_f32_e32 vcc, s19, v41
	v_pk_mul_f32 v[42:43], v[32:33], v[42:43]
	v_cndmask_b32_e32 v44, 0, v44, vcc
	v_cmp_nlt_f32_e32 vcc, s13, v41
	v_cndmask_b32_e32 v41, v36, v44, vcc
	v_mfma_f32_32x32x2f32 v[16:31], v82, v78, v[16:31]
	v_ldexp_f32 v44, v45, v46
	v_mul_f32_e32 v45, 0x3fb8aa3b, v43
	v_fma_f32 v46, v43, s15, -v45
	v_rndne_f32_e32 v47, v45
	v_fmac_f32_e32 v46, 0x32a5705f, v43
	v_sub_f32_e32 v45, v45, v47
	v_add_f32_e32 v45, v45, v46
	v_exp_f32_e32 v45, v45
	v_cvt_i32_f32_e32 v46, v47
	v_cmp_ngt_f32_e32 vcc, s19, v40
	v_cndmask_b32_e32 v44, 0, v44, vcc
	v_cmp_nlt_f32_e32 vcc, s13, v40
	v_cndmask_b32_e32 v40, v36, v44, vcc
	v_ldexp_f32 v44, v45, v46
	v_mul_f32_e32 v45, 0x3fb8aa3b, v42
	v_mfma_f32_32x32x2f32 v[16:31], v83, v79, v[16:31]
	v_fma_f32 v46, v42, s15, -v45
	v_rndne_f32_e32 v47, v45
	v_fmac_f32_e32 v46, 0x32a5705f, v42
	v_sub_f32_e32 v45, v45, v47
	v_add_f32_e32 v45, v45, v46
	v_exp_f32_e32 v45, v45
	v_cvt_i32_f32_e32 v46, v47
	v_cmp_ngt_f32_e32 vcc, s19, v43
	v_cndmask_b32_e32 v44, 0, v44, vcc
	v_cmp_nlt_f32_e32 vcc, s13, v43
	v_pk_add_f32 v[40:41], v[40:41], 1.0 op_sel_hi:[1,0]
	v_cndmask_b32_e32 v43, v36, v44, vcc
	v_ldexp_f32 v44, v45, v46
	v_div_scale_f32 v45, s[20:21], v41, v41, 1.0
	v_rcp_f32_e32 v46, v45
	v_cmp_ngt_f32_e32 vcc, s19, v42
	v_cndmask_b32_e32 v44, 0, v44, vcc
	v_cmp_nlt_f32_e32 vcc, s13, v42
	v_cndmask_b32_e32 v42, v36, v44, vcc
	v_fma_f32 v44, -v45, v46, 1.0
	v_fmac_f32_e32 v46, v44, v46
	v_div_scale_f32 v44, vcc, 1.0, v41, 1.0
	v_mul_f32_e32 v47, v44, v46
	v_mfma_f32_32x32x2f32 v[16:31], v72, v68, v[16:31]
	v_fma_f32 v68, -v45, v47, v44
	v_fmac_f32_e32 v47, v68, v46
	v_fma_f32 v44, -v45, v47, v44
	v_div_scale_f32 v45, s[20:21], v40, v40, 1.0
	v_rcp_f32_e32 v68, v45
	v_div_fmas_f32 v44, v44, v46, v47
	v_div_fixup_f32 v41, v44, v41, 1.0
	v_pk_add_f32 v[42:43], v[42:43], 1.0 op_sel_hi:[1,0]
	v_fma_f32 v44, -v45, v68, 1.0
	v_fmac_f32_e32 v68, v44, v68
	v_div_scale_f32 v44, vcc, 1.0, v40, 1.0
	v_mul_f32_e32 v46, v44, v68
	v_fma_f32 v47, -v45, v46, v44
	v_fmac_f32_e32 v46, v47, v68
	v_fma_f32 v44, -v45, v46, v44
	v_div_scale_f32 v45, s[20:21], v43, v43, 1.0
	v_rcp_f32_e32 v47, v45
	v_div_fmas_f32 v44, v44, v68, v46
	v_div_fixup_f32 v40, v44, v40, 1.0
	v_mfma_f32_32x32x2f32 v[16:31], v73, v69, v[16:31]
	v_fma_f32 v44, -v45, v47, 1.0
	v_fmac_f32_e32 v47, v44, v47
	v_div_scale_f32 v44, vcc, 1.0, v43, 1.0
	v_mul_f32_e32 v46, v44, v47
	v_fma_f32 v68, -v45, v46, v44
	v_fmac_f32_e32 v46, v68, v47
	v_fma_f32 v44, -v45, v46, v44
	v_div_scale_f32 v45, s[20:21], v42, v42, 1.0
	v_rcp_f32_e32 v68, v45
	v_div_fmas_f32 v44, v44, v47, v46
	v_div_fixup_f32 v43, v44, v43, 1.0
	v_pk_mul_f32 v[34:35], v[34:35], v[40:41]
	v_fma_f32 v44, -v45, v68, 1.0
	v_fmac_f32_e32 v68, v44, v68
	v_div_scale_f32 v44, vcc, 1.0, v42, 1.0
	v_mul_f32_e32 v46, v44, v68
	v_fma_f32 v47, -v45, v46, v44
	v_fmac_f32_e32 v46, v47, v68
	v_fma_f32 v44, -v45, v46, v44
	v_div_fmas_f32 v44, v44, v68, v46
	v_div_fixup_f32 v42, v44, v42, 1.0
	v_pk_mul_f32 v[32:33], v[32:33], v[42:43]
	v_lshlrev_b32_e32 v40, 2, v90
	v_add_u32_e32 v44, s17, v88
	buffer_store_dwordx4 v[32:35], v40, s[4:7], 0 offen
	v_add_u32_e32 v46, s16, v89
	v_lshlrev_b32_e32 v32, 2, v44
	buffer_load_dwordx4 v[32:35], v32, s[8:11], 0 offen
	v_lshlrev_b32_e32 v40, 2, v46
	buffer_load_dwordx4 v[40:43], v40, s[0:3], 0 offen
	v_mfma_f32_32x32x2f32 v[16:31], v74, v70, v[16:31]
	s_waitcnt vmcnt(1) lgkmcnt(0)
	v_pk_add_f32 v[34:35], v[86:87], v[34:35]
	v_mfma_f32_32x32x2f32 v[16:31], v75, v71, v[16:31]
	v_pk_add_f32 v[32:33], v[84:85], v[32:33]
	s_waitcnt vmcnt(0)
	v_pk_add_f32 v[34:35], v[34:35], v[42:43]
	v_pk_add_f32 v[32:33], v[32:33], v[40:41]
	v_pk_mul_f32 v[40:41], v[34:35], s[12:13] op_sel_hi:[1,0]
	v_pk_fma_f32 v[40:41], v[34:35], v[40:41], s[14:15] op_sel_hi:[1,1,0] neg_lo:[1,0,0] neg_hi:[1,0,0]
	v_pk_mul_f32 v[40:41], v[34:35], v[40:41]
	v_mul_f32_e32 v42, 0x3fb8aa3b, v41
	v_fma_f32 v43, v41, s15, -v42
	v_rndne_f32_e32 v45, v42
	v_fmac_f32_e32 v43, 0x32a5705f, v41
	v_sub_f32_e32 v42, v42, v45
	v_add_f32_e32 v42, v42, v43
	v_exp_f32_e32 v47, v42
	v_cvt_i32_f32_e32 v45, v45
	v_pk_mul_f32 v[42:43], v[32:33], s[12:13] op_sel_hi:[1,0]
	v_mfma_f32_32x32x2f32 v[16:31], v64, v60, v[16:31]
	v_pk_fma_f32 v[42:43], v[32:33], v[42:43], s[14:15] op_sel_hi:[1,1,0] neg_lo:[1,0,0] neg_hi:[1,0,0]
	v_ldexp_f32 v45, v47, v45
	v_mul_f32_e32 v47, 0x3fb8aa3b, v40
	v_rndne_f32_e32 v64, v47
	v_cmp_ngt_f32_e32 vcc, s19, v41
	v_pk_mul_f32 v[42:43], v[32:33], v[42:43]
	v_cndmask_b32_e32 v45, 0, v45, vcc
	v_cmp_nlt_f32_e32 vcc, s13, v41
	v_cndmask_b32_e32 v41, v36, v45, vcc
	v_cmp_ngt_f32_e32 vcc, s19, v40
	v_add_u32_e32 v60, s18, v90
	v_mfma_f32_32x32x2f32 v[16:31], v65, v61, v[16:31]
	v_fma_f32 v61, v40, s15, -v47
	v_fmac_f32_e32 v61, 0x32a5705f, v40
	v_sub_f32_e32 v47, v47, v64
	v_add_f32_e32 v47, v47, v61
	v_exp_f32_e32 v47, v47
	v_cvt_i32_f32_e32 v61, v64
	v_ldexp_f32 v45, v47, v61
	v_mul_f32_e32 v47, 0x3fb8aa3b, v43
	v_fma_f32 v61, v43, s15, -v47
	v_fmac_f32_e32 v61, 0x32a5705f, v43
	v_cndmask_b32_e32 v45, 0, v45, vcc
	v_cmp_nlt_f32_e32 vcc, s13, v40
	v_mfma_f32_32x32x2f32 v[16:31], v66, v62, v[16:31]
	v_rndne_f32_e32 v62, v47
	v_sub_f32_e32 v47, v47, v62
	v_add_f32_e32 v47, v47, v61
	v_exp_f32_e32 v47, v47
	v_cvt_i32_f32_e32 v61, v62
	v_cndmask_b32_e32 v40, v36, v45, vcc
	v_cmp_ngt_f32_e32 vcc, s19, v43
	v_pk_add_f32 v[40:41], v[40:41], 1.0 op_sel_hi:[1,0]
	v_ldexp_f32 v45, v47, v61
	v_mul_f32_e32 v47, 0x3fb8aa3b, v42
	v_fma_f32 v61, v42, s15, -v47
	v_rndne_f32_e32 v62, v47
	v_fmac_f32_e32 v61, 0x32a5705f, v42
	v_sub_f32_e32 v47, v47, v62
	v_add_f32_e32 v47, v47, v61
	v_mfma_f32_32x32x2f32 v[16:31], v67, v63, v[16:31]
	v_exp_f32_e32 v47, v47
	v_cvt_i32_f32_e32 v61, v62
	v_cndmask_b32_e32 v45, 0, v45, vcc
	v_cmp_nlt_f32_e32 vcc, s13, v43
	v_cndmask_b32_e32 v43, v36, v45, vcc
	v_ldexp_f32 v45, v47, v61
	v_div_scale_f32 v47, s[20:21], v41, v41, 1.0
	v_cmp_ngt_f32_e32 vcc, s19, v42
	v_cndmask_b32_e32 v45, 0, v45, vcc
	v_cmp_nlt_f32_e32 vcc, s13, v42
	v_cndmask_b32_e32 v42, v36, v45, vcc
	v_pk_add_f32 v[42:43], v[42:43], 1.0 op_sel_hi:[1,0]
	v_mfma_f32_32x32x2f32 v[16:31], v52, v56, v[16:31]
	v_rcp_f32_e32 v56, v47
	v_fma_f32 v45, -v47, v56, 1.0
	v_fmac_f32_e32 v56, v45, v56
	v_div_scale_f32 v45, vcc, 1.0, v41, 1.0
	v_mfma_f32_32x32x2f32 v[16:31], v53, v57, v[16:31]
	v_mul_f32_e32 v57, v45, v56
	v_fma_f32 v61, -v47, v57, v45
	v_fmac_f32_e32 v57, v61, v56
	v_fma_f32 v45, -v47, v57, v45
	v_div_scale_f32 v47, s[20:21], v40, v40, 1.0
	v_rcp_f32_e32 v61, v47
	v_div_fmas_f32 v45, v45, v56, v57
	v_div_fixup_f32 v41, v45, v41, 1.0
	v_fma_f32 v45, -v47, v61, 1.0
	v_fmac_f32_e32 v61, v45, v61
	v_div_scale_f32 v45, vcc, 1.0, v40, 1.0
	v_mul_f32_e32 v56, v45, v61
	v_mfma_f32_32x32x2f32 v[16:31], v54, v58, v[16:31]
	v_fma_f32 v57, -v47, v56, v45
	v_fmac_f32_e32 v56, v57, v61
	v_fma_f32 v45, -v47, v56, v45
	v_div_scale_f32 v47, s[20:21], v43, v43, 1.0
	v_rcp_f32_e32 v57, v47
	v_div_fmas_f32 v45, v45, v61, v56
	v_div_fixup_f32 v40, v45, v40, 1.0
	v_pk_mul_f32 v[34:35], v[34:35], v[40:41]
	v_fma_f32 v45, -v47, v57, 1.0
	v_fmac_f32_e32 v57, v45, v57
	v_div_scale_f32 v45, vcc, 1.0, v43, 1.0
	v_mul_f32_e32 v56, v45, v57
	v_fma_f32 v58, -v47, v56, v45
	v_mfma_f32_32x32x2f32 v[16:31], v55, v59, v[16:31]
	v_fmac_f32_e32 v56, v58, v57
	v_fma_f32 v45, -v47, v56, v45
	v_div_scale_f32 v47, s[20:21], v42, v42, 1.0
	v_rcp_f32_e32 v58, v47
	v_div_fmas_f32 v45, v45, v57, v56
	v_div_fixup_f32 v43, v45, v43, 1.0
	v_lshlrev_b32_e32 v40, 2, v60
	v_fma_f32 v45, -v47, v58, 1.0
	v_fmac_f32_e32 v58, v45, v58
	v_div_scale_f32 v45, vcc, 1.0, v42, 1.0
	v_mul_f32_e32 v56, v45, v58
	v_fma_f32 v57, -v47, v56, v45
	v_fmac_f32_e32 v56, v57, v58
	v_fma_f32 v45, -v47, v56, v45
	v_div_fmas_f32 v45, v45, v58, v56
	v_div_fixup_f32 v42, v45, v42, 1.0
	v_pk_mul_f32 v[32:33], v[32:33], v[42:43]
	buffer_store_dwordx4 v[32:35], v40, s[4:7], 0 offen
	s_waitcnt lgkmcnt(0)
	v_mad_u64_u32 v[32:33], s[20:21], s17, 29, v[44:45]
	v_mad_u64_u32 v[34:35], s[20:21], s16, 29, v[46:47]
	; wave barrier
	ds_write2_b32 v144, v16, v17 offset1:32
	ds_write2_b32 v144, v18, v19 offset0:64 offset1:96
	ds_write2_b32 v145, v22, v23 offset0:64 offset1:96
	ds_write2_b32 v145, v20, v21 offset1:32
	ds_write2_b32 v38, v24, v25 offset1:32
	ds_write2_b32 v38, v26, v27 offset0:64 offset1:96
	ds_write2_b32 v39, v30, v31 offset0:64 offset1:96
	ds_write2_b32 v39, v28, v29 offset1:32
	v_lshlrev_b32_e32 v16, 2, v32
	s_waitcnt lgkmcnt(0)
	; wave barrier
	buffer_load_dwordx4 v[18:21], v16, s[8:11], 0 offen
	v_lshlrev_b32_e32 v16, 2, v34
	buffer_load_dwordx4 v[22:25], v16, s[0:3], 0 offen
	ds_read_b128 v[26:29], v37
	ds_read_b128 v[40:43], v37 offset:128
	v_mad_u64_u32 v[16:17], s[20:21], s18, 29, v[60:61]
	v_add_u32_e32 v30, s18, v16
	v_mfma_f32_32x32x2f32 v[0:15], v52, v48, v[0:15]
	s_waitcnt vmcnt(1) lgkmcnt(1)
	v_pk_add_f32 v[20:21], v[28:29], v[20:21]
	v_pk_add_f32 v[18:19], v[26:27], v[18:19]
	s_waitcnt vmcnt(0)
	v_pk_add_f32 v[20:21], v[20:21], v[24:25]
	v_pk_add_f32 v[18:19], v[18:19], v[22:23]
	v_pk_mul_f32 v[22:23], v[20:21], s[12:13] op_sel_hi:[1,0]
	v_pk_fma_f32 v[22:23], v[20:21], v[22:23], s[14:15] op_sel_hi:[1,1,0] neg_lo:[1,0,0] neg_hi:[1,0,0]
	v_pk_mul_f32 v[22:23], v[20:21], v[22:23]
	v_mul_f32_e32 v17, 0x3fb8aa3b, v23
	v_fma_f32 v24, v23, s15, -v17
	v_rndne_f32_e32 v25, v17
	v_fmac_f32_e32 v24, 0x32a5705f, v23
	v_sub_f32_e32 v17, v17, v25
	v_add_f32_e32 v17, v17, v24
	v_exp_f32_e32 v17, v17
	v_cvt_i32_f32_e32 v26, v25
	v_pk_mul_f32 v[24:25], v[18:19], s[12:13] op_sel_hi:[1,0]
	v_pk_fma_f32 v[24:25], v[18:19], v[24:25], s[14:15] op_sel_hi:[1,1,0] neg_lo:[1,0,0] neg_hi:[1,0,0]
	v_cmp_ngt_f32_e32 vcc, s19, v23
	v_ldexp_f32 v17, v17, v26
	v_mul_f32_e32 v26, 0x3fb8aa3b, v22
	v_fma_f32 v27, v22, s15, -v26
	v_rndne_f32_e32 v28, v26
	v_fmac_f32_e32 v27, 0x32a5705f, v22
	v_sub_f32_e32 v26, v26, v28
	v_add_f32_e32 v26, v26, v27
	v_exp_f32_e32 v26, v26
	v_cvt_i32_f32_e32 v27, v28
	v_pk_mul_f32 v[24:25], v[18:19], v[24:25]
	v_cndmask_b32_e32 v17, 0, v17, vcc
	v_cmp_nlt_f32_e32 vcc, s13, v23
	v_cndmask_b32_e32 v23, v36, v17, vcc
	v_ldexp_f32 v17, v26, v27
	v_mul_f32_e32 v26, 0x3fb8aa3b, v25
	v_fma_f32 v27, v25, s15, -v26
	v_rndne_f32_e32 v28, v26
	v_fmac_f32_e32 v27, 0x32a5705f, v25
	v_sub_f32_e32 v26, v26, v28
	v_add_f32_e32 v26, v26, v27
	v_exp_f32_e32 v26, v26
	v_cvt_i32_f32_e32 v27, v28
	v_cmp_ngt_f32_e32 vcc, s19, v22
	v_cndmask_b32_e32 v17, 0, v17, vcc
	v_cmp_nlt_f32_e32 vcc, s13, v22
	v_cndmask_b32_e32 v22, v36, v17, vcc
	v_ldexp_f32 v17, v26, v27
	v_mul_f32_e32 v26, 0x3fb8aa3b, v24
	v_fma_f32 v27, v24, s15, -v26
	v_rndne_f32_e32 v28, v26
	v_fmac_f32_e32 v27, 0x32a5705f, v24
	v_sub_f32_e32 v26, v26, v28
	v_add_f32_e32 v26, v26, v27
	v_exp_f32_e32 v26, v26
	v_cvt_i32_f32_e32 v27, v28
	v_cmp_ngt_f32_e32 vcc, s19, v25
	v_cndmask_b32_e32 v17, 0, v17, vcc
	v_cmp_nlt_f32_e32 vcc, s13, v25
	v_pk_add_f32 v[22:23], v[22:23], 1.0 op_sel_hi:[1,0]
	v_cndmask_b32_e32 v25, v36, v17, vcc
	v_ldexp_f32 v17, v26, v27
	v_div_scale_f32 v26, s[20:21], v23, v23, 1.0
	v_rcp_f32_e32 v27, v26
	v_cmp_ngt_f32_e32 vcc, s19, v24
	v_cndmask_b32_e32 v17, 0, v17, vcc
	v_cmp_nlt_f32_e32 vcc, s13, v24
	v_cndmask_b32_e32 v24, v36, v17, vcc
	v_fma_f32 v17, -v26, v27, 1.0
	v_fmac_f32_e32 v27, v17, v27
	v_div_scale_f32 v17, vcc, 1.0, v23, 1.0
	v_mul_f32_e32 v28, v17, v27
	v_fma_f32 v29, -v26, v28, v17
	v_fmac_f32_e32 v28, v29, v27
	v_fma_f32 v17, -v26, v28, v17
	v_div_scale_f32 v26, s[20:21], v22, v22, 1.0
	v_rcp_f32_e32 v29, v26
	v_div_fmas_f32 v17, v17, v27, v28
	v_div_fixup_f32 v23, v17, v23, 1.0
	v_pk_add_f32 v[24:25], v[24:25], 1.0 op_sel_hi:[1,0]
	v_fma_f32 v17, -v26, v29, 1.0
	v_fmac_f32_e32 v29, v17, v29
	v_div_scale_f32 v17, vcc, 1.0, v22, 1.0
	v_mul_f32_e32 v27, v17, v29
	v_fma_f32 v28, -v26, v27, v17
	v_fmac_f32_e32 v27, v28, v29
	v_fma_f32 v17, -v26, v27, v17
	v_div_scale_f32 v26, s[20:21], v25, v25, 1.0
	v_rcp_f32_e32 v28, v26
	v_div_fmas_f32 v17, v17, v29, v27
	v_div_fixup_f32 v22, v17, v22, 1.0
	v_pk_mul_f32 v[20:21], v[20:21], v[22:23]
	v_fma_f32 v17, -v26, v28, 1.0
	v_fmac_f32_e32 v28, v17, v28
	v_div_scale_f32 v17, vcc, 1.0, v25, 1.0
	v_mul_f32_e32 v27, v17, v28
	v_fma_f32 v29, -v26, v27, v17
	v_fmac_f32_e32 v27, v29, v28
	v_fma_f32 v17, -v26, v27, v17
	v_div_scale_f32 v26, s[20:21], v24, v24, 1.0
	v_rcp_f32_e32 v29, v26
	v_div_fmas_f32 v17, v17, v28, v27
	v_div_fixup_f32 v25, v17, v25, 1.0
	v_mfma_f32_32x32x2f32 v[0:15], v53, v49, v[0:15]
	v_fma_f32 v17, -v26, v29, 1.0
	v_fmac_f32_e32 v29, v17, v29
	v_div_scale_f32 v17, vcc, 1.0, v24, 1.0
	v_mul_f32_e32 v27, v17, v29
	v_fma_f32 v28, -v26, v27, v17
	v_fmac_f32_e32 v27, v28, v29
	v_fma_f32 v17, -v26, v27, v17
	v_div_fmas_f32 v17, v17, v29, v27
	v_div_fixup_f32 v24, v17, v24, 1.0
	v_pk_mul_f32 v[18:19], v[18:19], v[24:25]
	v_lshlrev_b32_e32 v17, 2, v16
	buffer_store_dwordx4 v[18:21], v17, s[4:7], 0 offen
	v_add_u32_e32 v17, s17, v32
	v_add_u32_e32 v26, s16, v34
	v_lshlrev_b32_e32 v18, 2, v17
	buffer_load_dwordx4 v[18:21], v18, s[8:11], 0 offen
	v_lshlrev_b32_e32 v22, 2, v26
	buffer_load_dwordx4 v[22:25], v22, s[0:3], 0 offen
	v_add_u32_e32 v17, s17, v17
	v_mfma_f32_32x32x2f32 v[0:15], v54, v50, v[0:15]
	v_subrev_u32_e32 v16, 32, v16
	s_waitcnt vmcnt(1) lgkmcnt(0)
	v_pk_add_f32 v[20:21], v[42:43], v[20:21]
	v_pk_add_f32 v[18:19], v[40:41], v[18:19]
	s_waitcnt vmcnt(0)
	v_pk_add_f32 v[20:21], v[20:21], v[24:25]
	v_pk_add_f32 v[18:19], v[18:19], v[22:23]
	v_pk_mul_f32 v[22:23], v[20:21], s[12:13] op_sel_hi:[1,0]
	v_pk_fma_f32 v[22:23], v[20:21], v[22:23], s[14:15] op_sel_hi:[1,1,0] neg_lo:[1,0,0] neg_hi:[1,0,0]
	v_pk_mul_f32 v[22:23], v[20:21], v[22:23]
	v_mul_f32_e32 v24, 0x3fb8aa3b, v23
	v_fma_f32 v25, v23, s15, -v24
	v_rndne_f32_e32 v27, v24
	v_fmac_f32_e32 v25, 0x32a5705f, v23
	v_sub_f32_e32 v24, v24, v27
	v_add_f32_e32 v24, v24, v25
	v_exp_f32_e32 v28, v24
	v_cvt_i32_f32_e32 v27, v27
	v_pk_mul_f32 v[24:25], v[18:19], s[12:13] op_sel_hi:[1,0]
	v_pk_fma_f32 v[24:25], v[18:19], v[24:25], s[14:15] op_sel_hi:[1,1,0] neg_lo:[1,0,0] neg_hi:[1,0,0]
	v_cmp_ngt_f32_e32 vcc, s19, v23
	v_ldexp_f32 v27, v28, v27
	v_mul_f32_e32 v28, 0x3fb8aa3b, v22
	v_fma_f32 v29, v22, s15, -v28
	v_rndne_f32_e32 v31, v28
	v_fmac_f32_e32 v29, 0x32a5705f, v22
	v_sub_f32_e32 v28, v28, v31
	v_add_f32_e32 v28, v28, v29
	v_exp_f32_e32 v28, v28
	v_cvt_i32_f32_e32 v29, v31
	v_pk_mul_f32 v[24:25], v[18:19], v[24:25]
	v_cndmask_b32_e32 v27, 0, v27, vcc
	v_cmp_nlt_f32_e32 vcc, s13, v23
	v_cndmask_b32_e32 v23, v36, v27, vcc
	v_ldexp_f32 v27, v28, v29
	v_mul_f32_e32 v28, 0x3fb8aa3b, v25
	v_fma_f32 v29, v25, s15, -v28
	v_rndne_f32_e32 v31, v28
	v_fmac_f32_e32 v29, 0x32a5705f, v25
	v_sub_f32_e32 v28, v28, v31
	v_add_f32_e32 v28, v28, v29
	v_exp_f32_e32 v28, v28
	v_cvt_i32_f32_e32 v29, v31
	v_cmp_ngt_f32_e32 vcc, s19, v22
	v_cndmask_b32_e32 v27, 0, v27, vcc
	v_cmp_nlt_f32_e32 vcc, s13, v22
	v_cndmask_b32_e32 v22, v36, v27, vcc
	v_ldexp_f32 v27, v28, v29
	v_mul_f32_e32 v28, 0x3fb8aa3b, v24
	v_fma_f32 v29, v24, s15, -v28
	v_rndne_f32_e32 v31, v28
	v_fmac_f32_e32 v29, 0x32a5705f, v24
	v_sub_f32_e32 v28, v28, v31
	v_add_f32_e32 v28, v28, v29
	v_exp_f32_e32 v28, v28
	v_cvt_i32_f32_e32 v29, v31
	v_cmp_ngt_f32_e32 vcc, s19, v25
	v_cndmask_b32_e32 v27, 0, v27, vcc
	v_cmp_nlt_f32_e32 vcc, s13, v25
	v_pk_add_f32 v[22:23], v[22:23], 1.0 op_sel_hi:[1,0]
	v_cndmask_b32_e32 v25, v36, v27, vcc
	v_ldexp_f32 v27, v28, v29
	v_div_scale_f32 v28, s[20:21], v23, v23, 1.0
	v_rcp_f32_e32 v29, v28
	v_cmp_ngt_f32_e32 vcc, s19, v24
	v_cndmask_b32_e32 v27, 0, v27, vcc
	v_cmp_nlt_f32_e32 vcc, s13, v24
	v_cndmask_b32_e32 v24, v36, v27, vcc
	v_fma_f32 v27, -v28, v29, 1.0
	v_fmac_f32_e32 v29, v27, v29
	v_div_scale_f32 v27, vcc, 1.0, v23, 1.0
	v_mul_f32_e32 v31, v27, v29
	v_fma_f32 v33, -v28, v31, v27
	v_fmac_f32_e32 v31, v33, v29
	v_fma_f32 v27, -v28, v31, v27
	v_div_scale_f32 v28, s[20:21], v22, v22, 1.0
	v_rcp_f32_e32 v33, v28
	v_div_fmas_f32 v27, v27, v29, v31
	v_div_fixup_f32 v23, v27, v23, 1.0
	v_pk_add_f32 v[24:25], v[24:25], 1.0 op_sel_hi:[1,0]
	v_fma_f32 v27, -v28, v33, 1.0
	v_fmac_f32_e32 v33, v27, v33
	v_div_scale_f32 v27, vcc, 1.0, v22, 1.0
	v_mul_f32_e32 v29, v27, v33
	v_fma_f32 v31, -v28, v29, v27
	v_fmac_f32_e32 v29, v31, v33
	v_fma_f32 v27, -v28, v29, v27
	v_div_scale_f32 v28, s[20:21], v25, v25, 1.0
	v_rcp_f32_e32 v31, v28
	v_div_fmas_f32 v27, v27, v33, v29
	v_div_fixup_f32 v22, v27, v22, 1.0
	v_pk_mul_f32 v[20:21], v[20:21], v[22:23]
	v_fma_f32 v27, -v28, v31, 1.0
	v_fmac_f32_e32 v31, v27, v31
	v_div_scale_f32 v27, vcc, 1.0, v25, 1.0
	v_mul_f32_e32 v29, v27, v31
	v_fma_f32 v33, -v28, v29, v27
	v_fmac_f32_e32 v29, v33, v31
	v_fma_f32 v27, -v28, v29, v27
	v_div_scale_f32 v28, s[20:21], v24, v24, 1.0
	v_rcp_f32_e32 v33, v28
	v_div_fmas_f32 v27, v27, v31, v29
	v_div_fixup_f32 v25, v27, v25, 1.0
	v_lshlrev_b32_e32 v22, 2, v30
	v_fma_f32 v27, -v28, v33, 1.0
	v_fmac_f32_e32 v33, v27, v33
	v_div_scale_f32 v27, vcc, 1.0, v24, 1.0
	v_mul_f32_e32 v29, v27, v33
	v_fma_f32 v31, -v28, v29, v27
	v_fmac_f32_e32 v29, v31, v33
	v_fma_f32 v27, -v28, v29, v27
	v_div_fmas_f32 v27, v27, v33, v29
	v_div_fixup_f32 v24, v27, v24, 1.0
	v_pk_mul_f32 v[18:19], v[18:19], v[24:25]
	buffer_store_dwordx4 v[18:21], v22, s[4:7], 0 offen
	v_add_u32_e32 v31, s16, v26
	v_lshlrev_b32_e32 v18, 2, v17
	buffer_load_dwordx4 v[18:21], v18, s[8:11], 0 offen
	v_lshlrev_b32_e32 v22, 2, v31
	buffer_load_dwordx4 v[22:25], v22, s[0:3], 0 offen
	ds_read_b128 v[26:29], v37 offset:256
	ds_read_b128 v[40:43], v37 offset:384
	v_add_u32_e32 v30, s18, v30
	v_add_lshl_u32 v17, v17, s17, 2
	v_mfma_f32_32x32x2f32 v[0:15], v55, v51, v[0:15]
	s_waitcnt vmcnt(1) lgkmcnt(1)
	v_pk_add_f32 v[20:21], v[28:29], v[20:21]
	v_pk_add_f32 v[18:19], v[26:27], v[18:19]
	s_waitcnt vmcnt(0)
	v_pk_add_f32 v[20:21], v[20:21], v[24:25]
	v_pk_add_f32 v[18:19], v[18:19], v[22:23]
	v_pk_mul_f32 v[22:23], v[20:21], s[12:13] op_sel_hi:[1,0]
	v_pk_fma_f32 v[22:23], v[20:21], v[22:23], s[14:15] op_sel_hi:[1,1,0] neg_lo:[1,0,0] neg_hi:[1,0,0]
	v_pk_mul_f32 v[22:23], v[20:21], v[22:23]
	v_mul_f32_e32 v24, 0x3fb8aa3b, v23
	v_fma_f32 v25, v23, s15, -v24
	v_rndne_f32_e32 v26, v24
	v_fmac_f32_e32 v25, 0x32a5705f, v23
	v_sub_f32_e32 v24, v24, v26
	v_add_f32_e32 v24, v24, v25
	v_exp_f32_e32 v27, v24
	v_cvt_i32_f32_e32 v26, v26
	v_pk_mul_f32 v[24:25], v[18:19], s[12:13] op_sel_hi:[1,0]
	v_pk_fma_f32 v[24:25], v[18:19], v[24:25], s[14:15] op_sel_hi:[1,1,0] neg_lo:[1,0,0] neg_hi:[1,0,0]
	v_cmp_ngt_f32_e32 vcc, s19, v23
	v_ldexp_f32 v26, v27, v26
	v_mul_f32_e32 v27, 0x3fb8aa3b, v22
	v_fma_f32 v28, v22, s15, -v27
	v_rndne_f32_e32 v29, v27
	v_fmac_f32_e32 v28, 0x32a5705f, v22
	v_sub_f32_e32 v27, v27, v29
	v_add_f32_e32 v27, v27, v28
	v_exp_f32_e32 v27, v27
	v_cvt_i32_f32_e32 v28, v29
	v_pk_mul_f32 v[24:25], v[18:19], v[24:25]
	v_cndmask_b32_e32 v26, 0, v26, vcc
	v_cmp_nlt_f32_e32 vcc, s13, v23
	v_cndmask_b32_e32 v23, v36, v26, vcc
	v_ldexp_f32 v26, v27, v28
	v_mul_f32_e32 v27, 0x3fb8aa3b, v25
	v_fma_f32 v28, v25, s15, -v27
	v_rndne_f32_e32 v29, v27
	v_fmac_f32_e32 v28, 0x32a5705f, v25
	v_sub_f32_e32 v27, v27, v29
	v_add_f32_e32 v27, v27, v28
	v_exp_f32_e32 v27, v27
	v_cvt_i32_f32_e32 v28, v29
	v_cmp_ngt_f32_e32 vcc, s19, v22
	v_cndmask_b32_e32 v26, 0, v26, vcc
	v_cmp_nlt_f32_e32 vcc, s13, v22
	v_cndmask_b32_e32 v22, v36, v26, vcc
	v_ldexp_f32 v26, v27, v28
	v_mul_f32_e32 v27, 0x3fb8aa3b, v24
	v_fma_f32 v28, v24, s15, -v27
	v_rndne_f32_e32 v29, v27
	v_fmac_f32_e32 v28, 0x32a5705f, v24
	v_sub_f32_e32 v27, v27, v29
	v_add_f32_e32 v27, v27, v28
	v_exp_f32_e32 v27, v27
	v_cvt_i32_f32_e32 v28, v29
	v_cmp_ngt_f32_e32 vcc, s19, v25
	v_cndmask_b32_e32 v26, 0, v26, vcc
	v_cmp_nlt_f32_e32 vcc, s13, v25
	v_pk_add_f32 v[22:23], v[22:23], 1.0 op_sel_hi:[1,0]
	v_cndmask_b32_e32 v25, v36, v26, vcc
	v_ldexp_f32 v26, v27, v28
	v_div_scale_f32 v27, s[20:21], v23, v23, 1.0
	v_rcp_f32_e32 v28, v27
	v_cmp_ngt_f32_e32 vcc, s19, v24
	v_cndmask_b32_e32 v26, 0, v26, vcc
	v_cmp_nlt_f32_e32 vcc, s13, v24
	v_cndmask_b32_e32 v24, v36, v26, vcc
	v_fma_f32 v26, -v27, v28, 1.0
	v_fmac_f32_e32 v28, v26, v28
	v_div_scale_f32 v26, vcc, 1.0, v23, 1.0
	v_mul_f32_e32 v29, v26, v28
	v_fma_f32 v33, -v27, v29, v26
	v_fmac_f32_e32 v29, v33, v28
	v_fma_f32 v26, -v27, v29, v26
	v_div_scale_f32 v27, s[20:21], v22, v22, 1.0
	v_rcp_f32_e32 v33, v27
	v_div_fmas_f32 v26, v26, v28, v29
	v_div_fixup_f32 v23, v26, v23, 1.0
	v_pk_add_f32 v[24:25], v[24:25], 1.0 op_sel_hi:[1,0]
	v_fma_f32 v26, -v27, v33, 1.0
	v_fmac_f32_e32 v33, v26, v33
	v_div_scale_f32 v26, vcc, 1.0, v22, 1.0
	v_mul_f32_e32 v28, v26, v33
	v_fma_f32 v29, -v27, v28, v26
	v_fmac_f32_e32 v28, v29, v33
	v_fma_f32 v26, -v27, v28, v26
	v_div_scale_f32 v27, s[20:21], v25, v25, 1.0
	v_rcp_f32_e32 v29, v27
	v_div_fmas_f32 v26, v26, v33, v28
	v_div_fixup_f32 v22, v26, v22, 1.0
	v_pk_mul_f32 v[20:21], v[20:21], v[22:23]
	v_fma_f32 v26, -v27, v29, 1.0
	v_fmac_f32_e32 v29, v26, v29
	v_div_scale_f32 v26, vcc, 1.0, v25, 1.0
	v_mul_f32_e32 v28, v26, v29
	v_fma_f32 v33, -v27, v28, v26
	v_fmac_f32_e32 v28, v33, v29
	v_fma_f32 v26, -v27, v28, v26
	v_div_scale_f32 v27, s[20:21], v24, v24, 1.0
	v_rcp_f32_e32 v33, v27
	v_div_fmas_f32 v26, v26, v29, v28
	v_div_fixup_f32 v25, v26, v25, 1.0
	v_lshlrev_b32_e32 v22, 2, v30
	v_fma_f32 v26, -v27, v33, 1.0
	v_fmac_f32_e32 v33, v26, v33
	v_div_scale_f32 v26, vcc, 1.0, v24, 1.0
	v_mul_f32_e32 v28, v26, v33
	v_fma_f32 v29, -v27, v28, v26
	v_fmac_f32_e32 v28, v29, v33
	v_fma_f32 v26, -v27, v28, v26
	v_div_fmas_f32 v26, v26, v33, v28
	v_div_fixup_f32 v24, v26, v24, 1.0
	v_pk_mul_f32 v[18:19], v[18:19], v[24:25]
	buffer_store_dwordx4 v[18:21], v22, s[4:7], 0 offen
	buffer_load_dwordx4 v[18:21], v17, s[8:11], 0 offen
	v_add_lshl_u32 v17, v31, s16, 2
	buffer_load_dwordx4 v[22:25], v17, s[0:3], 0 offen
	s_waitcnt vmcnt(1) lgkmcnt(0)
	v_pk_add_f32 v[20:21], v[42:43], v[20:21]
	v_pk_add_f32 v[18:19], v[40:41], v[18:19]
	s_waitcnt vmcnt(0)
	v_pk_add_f32 v[20:21], v[20:21], v[24:25]
	v_pk_add_f32 v[18:19], v[18:19], v[22:23]
	v_pk_mul_f32 v[22:23], v[20:21], s[12:13] op_sel_hi:[1,0]
	v_pk_fma_f32 v[22:23], v[20:21], v[22:23], s[14:15] op_sel_hi:[1,1,0] neg_lo:[1,0,0] neg_hi:[1,0,0]
	v_pk_mul_f32 v[22:23], v[20:21], v[22:23]
	v_mul_f32_e32 v17, 0x3fb8aa3b, v23
	v_fma_f32 v24, v23, s15, -v17
	v_rndne_f32_e32 v25, v17
	v_fmac_f32_e32 v24, 0x32a5705f, v23
	v_sub_f32_e32 v17, v17, v25
	v_add_f32_e32 v17, v17, v24
	v_exp_f32_e32 v17, v17
	v_cvt_i32_f32_e32 v26, v25
	v_pk_mul_f32 v[24:25], v[18:19], s[12:13] op_sel_hi:[1,0]
	v_pk_fma_f32 v[24:25], v[18:19], v[24:25], s[14:15] op_sel_hi:[1,1,0] neg_lo:[1,0,0] neg_hi:[1,0,0]
	v_cmp_ngt_f32_e32 vcc, s19, v23
	v_ldexp_f32 v17, v17, v26
	v_mul_f32_e32 v26, 0x3fb8aa3b, v22
	v_fma_f32 v27, v22, s15, -v26
	v_rndne_f32_e32 v28, v26
	v_fmac_f32_e32 v27, 0x32a5705f, v22
	v_sub_f32_e32 v26, v26, v28
	v_add_f32_e32 v26, v26, v27
	v_exp_f32_e32 v26, v26
	v_cvt_i32_f32_e32 v27, v28
	v_pk_mul_f32 v[24:25], v[18:19], v[24:25]
	v_cndmask_b32_e32 v17, 0, v17, vcc
	v_cmp_nlt_f32_e32 vcc, s13, v23
	v_cndmask_b32_e32 v23, v36, v17, vcc
	v_ldexp_f32 v17, v26, v27
	v_mul_f32_e32 v26, 0x3fb8aa3b, v25
	v_fma_f32 v27, v25, s15, -v26
	v_rndne_f32_e32 v28, v26
	v_fmac_f32_e32 v27, 0x32a5705f, v25
	v_sub_f32_e32 v26, v26, v28
	v_add_f32_e32 v26, v26, v27
	v_exp_f32_e32 v26, v26
	v_cvt_i32_f32_e32 v27, v28
	v_cmp_ngt_f32_e32 vcc, s19, v22
	v_cndmask_b32_e32 v17, 0, v17, vcc
	v_cmp_nlt_f32_e32 vcc, s13, v22
	v_cndmask_b32_e32 v22, v36, v17, vcc
	v_ldexp_f32 v17, v26, v27
	v_mul_f32_e32 v26, 0x3fb8aa3b, v24
	v_fma_f32 v27, v24, s15, -v26
	v_rndne_f32_e32 v28, v26
	v_fmac_f32_e32 v27, 0x32a5705f, v24
	v_sub_f32_e32 v26, v26, v28
	v_add_f32_e32 v26, v26, v27
	v_exp_f32_e32 v26, v26
	v_cvt_i32_f32_e32 v27, v28
	v_cmp_ngt_f32_e32 vcc, s19, v25
	v_cndmask_b32_e32 v17, 0, v17, vcc
	v_cmp_nlt_f32_e32 vcc, s13, v25
	v_pk_add_f32 v[22:23], v[22:23], 1.0 op_sel_hi:[1,0]
	v_cndmask_b32_e32 v25, v36, v17, vcc
	v_ldexp_f32 v17, v26, v27
	v_div_scale_f32 v26, s[20:21], v23, v23, 1.0
	v_rcp_f32_e32 v27, v26
	v_cmp_ngt_f32_e32 vcc, s19, v24
	v_cndmask_b32_e32 v17, 0, v17, vcc
	v_cmp_nlt_f32_e32 vcc, s13, v24
	v_cndmask_b32_e32 v24, v36, v17, vcc
	v_fma_f32 v17, -v26, v27, 1.0
	v_fmac_f32_e32 v27, v17, v27
	v_div_scale_f32 v17, vcc, 1.0, v23, 1.0
	v_mul_f32_e32 v28, v17, v27
	v_fma_f32 v29, -v26, v28, v17
	v_fmac_f32_e32 v28, v29, v27
	v_fma_f32 v17, -v26, v28, v17
	v_div_scale_f32 v26, s[20:21], v22, v22, 1.0
	v_rcp_f32_e32 v29, v26
	v_div_fmas_f32 v17, v17, v27, v28
	v_div_fixup_f32 v23, v17, v23, 1.0
	v_pk_add_f32 v[24:25], v[24:25], 1.0 op_sel_hi:[1,0]
	v_fma_f32 v17, -v26, v29, 1.0
	v_fmac_f32_e32 v29, v17, v29
	v_div_scale_f32 v17, vcc, 1.0, v22, 1.0
	v_mul_f32_e32 v27, v17, v29
	v_fma_f32 v28, -v26, v27, v17
	v_fmac_f32_e32 v27, v28, v29
	v_fma_f32 v17, -v26, v27, v17
	v_div_scale_f32 v26, s[20:21], v25, v25, 1.0
	v_rcp_f32_e32 v28, v26
	v_div_fmas_f32 v17, v17, v29, v27
	v_div_fixup_f32 v22, v17, v22, 1.0
	v_pk_mul_f32 v[20:21], v[20:21], v[22:23]
	v_fma_f32 v17, -v26, v28, 1.0
	v_fmac_f32_e32 v28, v17, v28
	v_div_scale_f32 v17, vcc, 1.0, v25, 1.0
	v_mul_f32_e32 v27, v17, v28
	v_fma_f32 v29, -v26, v27, v17
	v_fmac_f32_e32 v27, v29, v28
	v_fma_f32 v17, -v26, v27, v17
	v_div_scale_f32 v26, s[20:21], v24, v24, 1.0
	v_rcp_f32_e32 v29, v26
	v_div_fmas_f32 v17, v17, v28, v27
	v_div_fixup_f32 v25, v17, v25, 1.0
	v_fma_f32 v17, -v26, v29, 1.0
	v_fmac_f32_e32 v29, v17, v29
	v_div_scale_f32 v17, vcc, 1.0, v24, 1.0
	v_mul_f32_e32 v27, v17, v29
	v_fma_f32 v28, -v26, v27, v17
	v_fmac_f32_e32 v27, v28, v29
	v_fma_f32 v17, -v26, v27, v17
	v_div_fmas_f32 v17, v17, v29, v27
	v_div_fixup_f32 v24, v17, v24, 1.0
	v_pk_mul_f32 v[18:19], v[18:19], v[24:25]
	v_add_lshl_u32 v17, v30, s18, 2
	buffer_store_dwordx4 v[18:21], v17, s[4:7], 0 offen
	v_subrev_u32_e32 v17, 32, v32
	v_subrev_u32_e32 v18, 32, v34
	s_waitcnt lgkmcnt(0)
	; wave barrier
	ds_write2_b32 v144, v0, v1 offset1:32
	ds_write2_b32 v144, v2, v3 offset0:64 offset1:96
	ds_write2_b32 v145, v6, v7 offset0:64 offset1:96
	ds_write2_b32 v145, v4, v5 offset1:32
	ds_write2_b32 v38, v8, v9 offset1:32
	ds_write2_b32 v38, v10, v11 offset0:64 offset1:96
	ds_write2_b32 v39, v14, v15 offset0:64 offset1:96
	ds_write2_b32 v39, v12, v13 offset1:32
	v_lshlrev_b32_e32 v0, 2, v17
	s_waitcnt lgkmcnt(0)
	; wave barrier
	buffer_load_dwordx4 v[0:3], v0, s[8:11], 0 offen
	v_lshlrev_b32_e32 v4, 2, v18
	buffer_load_dwordx4 v[4:7], v4, s[0:3], 0 offen
	ds_read_b128 v[8:11], v37
	ds_read_b128 v[12:15], v37 offset:128
	s_waitcnt vmcnt(1) lgkmcnt(1)
	v_pk_add_f32 v[2:3], v[10:11], v[2:3]
	v_pk_add_f32 v[0:1], v[8:9], v[0:1]
	s_waitcnt vmcnt(0)
	v_pk_add_f32 v[2:3], v[2:3], v[6:7]
	v_pk_add_f32 v[0:1], v[0:1], v[4:5]
	v_pk_mul_f32 v[4:5], v[2:3], s[12:13] op_sel_hi:[1,0]
	v_pk_fma_f32 v[4:5], v[2:3], v[4:5], s[14:15] op_sel_hi:[1,1,0] neg_lo:[1,0,0] neg_hi:[1,0,0]
	v_pk_mul_f32 v[4:5], v[2:3], v[4:5]
	v_mul_f32_e32 v6, 0x3fb8aa3b, v5
	v_fma_f32 v7, v5, s15, -v6
	v_rndne_f32_e32 v8, v6
	v_fmac_f32_e32 v7, 0x32a5705f, v5
	v_sub_f32_e32 v6, v6, v8
	v_add_f32_e32 v6, v6, v7
	v_exp_f32_e32 v9, v6
	v_cvt_i32_f32_e32 v8, v8
	v_pk_mul_f32 v[6:7], v[0:1], s[12:13] op_sel_hi:[1,0]
	v_pk_fma_f32 v[6:7], v[0:1], v[6:7], s[14:15] op_sel_hi:[1,1,0] neg_lo:[1,0,0] neg_hi:[1,0,0]
	v_cmp_ngt_f32_e32 vcc, s19, v5
	v_ldexp_f32 v8, v9, v8
	v_mul_f32_e32 v9, 0x3fb8aa3b, v4
	v_fma_f32 v10, v4, s15, -v9
	v_rndne_f32_e32 v11, v9
	v_fmac_f32_e32 v10, 0x32a5705f, v4
	v_sub_f32_e32 v9, v9, v11
	v_add_f32_e32 v9, v9, v10
	v_exp_f32_e32 v9, v9
	v_cvt_i32_f32_e32 v10, v11
	v_pk_mul_f32 v[6:7], v[0:1], v[6:7]
	v_cndmask_b32_e32 v8, 0, v8, vcc
	v_cmp_nlt_f32_e32 vcc, s13, v5
	v_cndmask_b32_e32 v5, v36, v8, vcc
	v_ldexp_f32 v8, v9, v10
	v_mul_f32_e32 v9, 0x3fb8aa3b, v7
	v_fma_f32 v10, v7, s15, -v9
	v_rndne_f32_e32 v11, v9
	v_fmac_f32_e32 v10, 0x32a5705f, v7
	v_sub_f32_e32 v9, v9, v11
	v_add_f32_e32 v9, v9, v10
	v_exp_f32_e32 v9, v9
	v_cvt_i32_f32_e32 v10, v11
	v_cmp_ngt_f32_e32 vcc, s19, v4
	v_cndmask_b32_e32 v8, 0, v8, vcc
	v_cmp_nlt_f32_e32 vcc, s13, v4
	v_cndmask_b32_e32 v4, v36, v8, vcc
	v_ldexp_f32 v8, v9, v10
	v_mul_f32_e32 v9, 0x3fb8aa3b, v6
	v_fma_f32 v10, v6, s15, -v9
	v_rndne_f32_e32 v11, v9
	v_fmac_f32_e32 v10, 0x32a5705f, v6
	v_sub_f32_e32 v9, v9, v11
	v_add_f32_e32 v9, v9, v10
	v_exp_f32_e32 v9, v9
	v_cvt_i32_f32_e32 v10, v11
	v_cmp_ngt_f32_e32 vcc, s19, v7
	v_cndmask_b32_e32 v8, 0, v8, vcc
	v_cmp_nlt_f32_e32 vcc, s13, v7
	v_pk_add_f32 v[4:5], v[4:5], 1.0 op_sel_hi:[1,0]
	v_cndmask_b32_e32 v7, v36, v8, vcc
	v_ldexp_f32 v8, v9, v10
	v_div_scale_f32 v9, s[20:21], v5, v5, 1.0
	v_rcp_f32_e32 v10, v9
	v_cmp_ngt_f32_e32 vcc, s19, v6
	v_cndmask_b32_e32 v8, 0, v8, vcc
	v_cmp_nlt_f32_e32 vcc, s13, v6
	v_cndmask_b32_e32 v6, v36, v8, vcc
	v_fma_f32 v8, -v9, v10, 1.0
	v_fmac_f32_e32 v10, v8, v10
	v_div_scale_f32 v8, vcc, 1.0, v5, 1.0
	v_mul_f32_e32 v11, v8, v10
	v_fma_f32 v19, -v9, v11, v8
	v_fmac_f32_e32 v11, v19, v10
	v_fma_f32 v8, -v9, v11, v8
	v_div_scale_f32 v9, s[20:21], v4, v4, 1.0
	v_rcp_f32_e32 v19, v9
	v_div_fmas_f32 v8, v8, v10, v11
	v_div_fixup_f32 v5, v8, v5, 1.0
	v_pk_add_f32 v[6:7], v[6:7], 1.0 op_sel_hi:[1,0]
	v_fma_f32 v8, -v9, v19, 1.0
	v_fmac_f32_e32 v19, v8, v19
	v_div_scale_f32 v8, vcc, 1.0, v4, 1.0
	v_mul_f32_e32 v10, v8, v19
	v_fma_f32 v11, -v9, v10, v8
	v_fmac_f32_e32 v10, v11, v19
	v_fma_f32 v8, -v9, v10, v8
	v_div_scale_f32 v9, s[20:21], v7, v7, 1.0
	v_rcp_f32_e32 v11, v9
	v_div_fmas_f32 v8, v8, v19, v10
	v_div_fixup_f32 v4, v8, v4, 1.0
	v_pk_mul_f32 v[2:3], v[2:3], v[4:5]
	v_fma_f32 v8, -v9, v11, 1.0
	v_fmac_f32_e32 v11, v8, v11
	v_div_scale_f32 v8, vcc, 1.0, v7, 1.0
	v_mul_f32_e32 v10, v8, v11
	v_fma_f32 v19, -v9, v10, v8
	v_fmac_f32_e32 v10, v19, v11
	v_fma_f32 v8, -v9, v10, v8
	v_div_scale_f32 v9, s[20:21], v6, v6, 1.0
	v_rcp_f32_e32 v19, v9
	v_div_fmas_f32 v8, v8, v11, v10
	v_div_fixup_f32 v7, v8, v7, 1.0
	v_lshlrev_b32_e32 v4, 2, v16
	v_fma_f32 v8, -v9, v19, 1.0
	v_fmac_f32_e32 v19, v8, v19
	v_div_scale_f32 v8, vcc, 1.0, v6, 1.0
	v_mul_f32_e32 v10, v8, v19
	v_fma_f32 v11, -v9, v10, v8
	v_fmac_f32_e32 v10, v11, v19
	v_fma_f32 v8, -v9, v10, v8
	v_div_fmas_f32 v8, v8, v19, v10
	v_div_fixup_f32 v6, v8, v6, 1.0
	v_pk_mul_f32 v[0:1], v[0:1], v[6:7]
	v_add_u32_e32 v8, s17, v17
	buffer_store_dwordx4 v[0:3], v4, s[4:7], 0 offen
	v_add_u32_e32 v9, s16, v18
	v_lshlrev_b32_e32 v0, 2, v8
	buffer_load_dwordx4 v[0:3], v0, s[8:11], 0 offen
	v_lshlrev_b32_e32 v4, 2, v9
	buffer_load_dwordx4 v[4:7], v4, s[0:3], 0 offen
	v_add_u32_e32 v16, s18, v16
	v_add_u32_e32 v17, s17, v8
	;; [unrolled: 1-line block ×3, first 2 shown]
	s_waitcnt vmcnt(1) lgkmcnt(0)
	v_pk_add_f32 v[2:3], v[14:15], v[2:3]
	v_pk_add_f32 v[0:1], v[12:13], v[0:1]
	s_waitcnt vmcnt(0)
	v_pk_add_f32 v[2:3], v[2:3], v[6:7]
	v_pk_add_f32 v[0:1], v[0:1], v[4:5]
	v_pk_mul_f32 v[4:5], v[2:3], s[12:13] op_sel_hi:[1,0]
	v_pk_fma_f32 v[4:5], v[2:3], v[4:5], s[14:15] op_sel_hi:[1,1,0] neg_lo:[1,0,0] neg_hi:[1,0,0]
	v_pk_mul_f32 v[4:5], v[2:3], v[4:5]
	v_mul_f32_e32 v6, 0x3fb8aa3b, v5
	v_fma_f32 v7, v5, s15, -v6
	v_rndne_f32_e32 v10, v6
	v_fmac_f32_e32 v7, 0x32a5705f, v5
	v_sub_f32_e32 v6, v6, v10
	v_add_f32_e32 v6, v6, v7
	v_exp_f32_e32 v11, v6
	v_cvt_i32_f32_e32 v10, v10
	v_pk_mul_f32 v[6:7], v[0:1], s[12:13] op_sel_hi:[1,0]
	v_pk_fma_f32 v[6:7], v[0:1], v[6:7], s[14:15] op_sel_hi:[1,1,0] neg_lo:[1,0,0] neg_hi:[1,0,0]
	v_cmp_ngt_f32_e32 vcc, s19, v5
	v_ldexp_f32 v10, v11, v10
	v_mul_f32_e32 v11, 0x3fb8aa3b, v4
	v_fma_f32 v12, v4, s15, -v11
	v_rndne_f32_e32 v13, v11
	v_fmac_f32_e32 v12, 0x32a5705f, v4
	v_sub_f32_e32 v11, v11, v13
	v_add_f32_e32 v11, v11, v12
	v_exp_f32_e32 v11, v11
	v_cvt_i32_f32_e32 v12, v13
	v_pk_mul_f32 v[6:7], v[0:1], v[6:7]
	v_cndmask_b32_e32 v10, 0, v10, vcc
	v_cmp_nlt_f32_e32 vcc, s13, v5
	v_cndmask_b32_e32 v5, v36, v10, vcc
	v_ldexp_f32 v10, v11, v12
	v_mul_f32_e32 v11, 0x3fb8aa3b, v7
	v_fma_f32 v12, v7, s15, -v11
	v_rndne_f32_e32 v13, v11
	v_fmac_f32_e32 v12, 0x32a5705f, v7
	v_sub_f32_e32 v11, v11, v13
	v_add_f32_e32 v11, v11, v12
	v_exp_f32_e32 v11, v11
	v_cvt_i32_f32_e32 v12, v13
	v_cmp_ngt_f32_e32 vcc, s19, v4
	v_cndmask_b32_e32 v10, 0, v10, vcc
	v_cmp_nlt_f32_e32 vcc, s13, v4
	v_cndmask_b32_e32 v4, v36, v10, vcc
	v_ldexp_f32 v10, v11, v12
	v_mul_f32_e32 v11, 0x3fb8aa3b, v6
	v_fma_f32 v12, v6, s15, -v11
	v_rndne_f32_e32 v13, v11
	v_fmac_f32_e32 v12, 0x32a5705f, v6
	v_sub_f32_e32 v11, v11, v13
	v_add_f32_e32 v11, v11, v12
	v_exp_f32_e32 v11, v11
	v_cvt_i32_f32_e32 v12, v13
	v_cmp_ngt_f32_e32 vcc, s19, v7
	v_cndmask_b32_e32 v10, 0, v10, vcc
	v_cmp_nlt_f32_e32 vcc, s13, v7
	v_pk_add_f32 v[4:5], v[4:5], 1.0 op_sel_hi:[1,0]
	v_cndmask_b32_e32 v7, v36, v10, vcc
	v_ldexp_f32 v10, v11, v12
	v_div_scale_f32 v11, s[20:21], v5, v5, 1.0
	v_rcp_f32_e32 v12, v11
	v_cmp_ngt_f32_e32 vcc, s19, v6
	v_cndmask_b32_e32 v10, 0, v10, vcc
	v_cmp_nlt_f32_e32 vcc, s13, v6
	v_cndmask_b32_e32 v6, v36, v10, vcc
	v_fma_f32 v10, -v11, v12, 1.0
	v_fmac_f32_e32 v12, v10, v12
	v_div_scale_f32 v10, vcc, 1.0, v5, 1.0
	v_mul_f32_e32 v13, v10, v12
	v_fma_f32 v14, -v11, v13, v10
	v_fmac_f32_e32 v13, v14, v12
	v_fma_f32 v10, -v11, v13, v10
	v_div_scale_f32 v11, s[20:21], v4, v4, 1.0
	v_rcp_f32_e32 v14, v11
	v_div_fmas_f32 v10, v10, v12, v13
	v_div_fixup_f32 v5, v10, v5, 1.0
	v_pk_add_f32 v[6:7], v[6:7], 1.0 op_sel_hi:[1,0]
	v_fma_f32 v10, -v11, v14, 1.0
	v_fmac_f32_e32 v14, v10, v14
	v_div_scale_f32 v10, vcc, 1.0, v4, 1.0
	v_mul_f32_e32 v12, v10, v14
	v_fma_f32 v13, -v11, v12, v10
	v_fmac_f32_e32 v12, v13, v14
	v_fma_f32 v10, -v11, v12, v10
	v_div_scale_f32 v11, s[20:21], v7, v7, 1.0
	v_rcp_f32_e32 v13, v11
	v_div_fmas_f32 v10, v10, v14, v12
	v_div_fixup_f32 v4, v10, v4, 1.0
	v_pk_mul_f32 v[2:3], v[2:3], v[4:5]
	v_fma_f32 v10, -v11, v13, 1.0
	v_fmac_f32_e32 v13, v10, v13
	v_div_scale_f32 v10, vcc, 1.0, v7, 1.0
	v_mul_f32_e32 v12, v10, v13
	v_fma_f32 v14, -v11, v12, v10
	v_fmac_f32_e32 v12, v14, v13
	v_fma_f32 v10, -v11, v12, v10
	v_div_scale_f32 v11, s[20:21], v6, v6, 1.0
	v_rcp_f32_e32 v14, v11
	v_div_fmas_f32 v10, v10, v13, v12
	v_div_fixup_f32 v7, v10, v7, 1.0
	v_lshlrev_b32_e32 v4, 2, v16
	v_fma_f32 v10, -v11, v14, 1.0
	v_fmac_f32_e32 v14, v10, v14
	v_div_scale_f32 v10, vcc, 1.0, v6, 1.0
	v_mul_f32_e32 v12, v10, v14
	v_fma_f32 v13, -v11, v12, v10
	v_fmac_f32_e32 v12, v13, v14
	v_fma_f32 v10, -v11, v12, v10
	v_div_fmas_f32 v10, v10, v14, v12
	v_div_fixup_f32 v6, v10, v6, 1.0
	v_pk_mul_f32 v[0:1], v[0:1], v[6:7]
	buffer_store_dwordx4 v[0:3], v4, s[4:7], 0 offen
	v_lshlrev_b32_e32 v4, 2, v18
	v_lshlrev_b32_e32 v0, 2, v17
	buffer_load_dwordx4 v[0:3], v0, s[8:11], 0 offen
	ds_read_b128 v[8:11], v37 offset:256
	ds_read_b128 v[12:15], v37 offset:384
	buffer_load_dwordx4 v[4:7], v4, s[0:3], 0 offen
	v_add_u32_e32 v16, s18, v16
	s_waitcnt vmcnt(1) lgkmcnt(1)
	v_pk_add_f32 v[2:3], v[10:11], v[2:3]
	v_pk_add_f32 v[0:1], v[8:9], v[0:1]
	s_waitcnt vmcnt(0)
	v_pk_add_f32 v[2:3], v[2:3], v[6:7]
	v_pk_add_f32 v[0:1], v[0:1], v[4:5]
	v_pk_mul_f32 v[4:5], v[2:3], s[12:13] op_sel_hi:[1,0]
	v_pk_fma_f32 v[4:5], v[2:3], v[4:5], s[14:15] op_sel_hi:[1,1,0] neg_lo:[1,0,0] neg_hi:[1,0,0]
	v_pk_mul_f32 v[4:5], v[2:3], v[4:5]
	v_mul_f32_e32 v6, 0x3fb8aa3b, v5
	v_fma_f32 v7, v5, s15, -v6
	v_rndne_f32_e32 v8, v6
	v_fmac_f32_e32 v7, 0x32a5705f, v5
	v_sub_f32_e32 v6, v6, v8
	v_add_f32_e32 v6, v6, v7
	v_exp_f32_e32 v9, v6
	v_cvt_i32_f32_e32 v8, v8
	v_pk_mul_f32 v[6:7], v[0:1], s[12:13] op_sel_hi:[1,0]
	v_pk_fma_f32 v[6:7], v[0:1], v[6:7], s[14:15] op_sel_hi:[1,1,0] neg_lo:[1,0,0] neg_hi:[1,0,0]
	v_cmp_ngt_f32_e32 vcc, s19, v5
	v_ldexp_f32 v8, v9, v8
	v_mul_f32_e32 v9, 0x3fb8aa3b, v4
	v_fma_f32 v10, v4, s15, -v9
	v_rndne_f32_e32 v11, v9
	v_fmac_f32_e32 v10, 0x32a5705f, v4
	v_sub_f32_e32 v9, v9, v11
	v_add_f32_e32 v9, v9, v10
	v_exp_f32_e32 v9, v9
	v_cvt_i32_f32_e32 v10, v11
	v_pk_mul_f32 v[6:7], v[0:1], v[6:7]
	v_cndmask_b32_e32 v8, 0, v8, vcc
	v_cmp_nlt_f32_e32 vcc, s13, v5
	v_cndmask_b32_e32 v5, v36, v8, vcc
	v_ldexp_f32 v8, v9, v10
	v_mul_f32_e32 v9, 0x3fb8aa3b, v7
	v_fma_f32 v10, v7, s15, -v9
	v_rndne_f32_e32 v11, v9
	v_fmac_f32_e32 v10, 0x32a5705f, v7
	v_sub_f32_e32 v9, v9, v11
	v_add_f32_e32 v9, v9, v10
	v_exp_f32_e32 v9, v9
	v_cvt_i32_f32_e32 v10, v11
	v_cmp_ngt_f32_e32 vcc, s19, v4
	v_cndmask_b32_e32 v8, 0, v8, vcc
	v_cmp_nlt_f32_e32 vcc, s13, v4
	v_cndmask_b32_e32 v4, v36, v8, vcc
	v_ldexp_f32 v8, v9, v10
	v_mul_f32_e32 v9, 0x3fb8aa3b, v6
	v_fma_f32 v10, v6, s15, -v9
	v_rndne_f32_e32 v11, v9
	v_fmac_f32_e32 v10, 0x32a5705f, v6
	v_sub_f32_e32 v9, v9, v11
	v_add_f32_e32 v9, v9, v10
	v_exp_f32_e32 v9, v9
	v_cvt_i32_f32_e32 v10, v11
	v_cmp_ngt_f32_e32 vcc, s19, v7
	v_cndmask_b32_e32 v8, 0, v8, vcc
	v_cmp_nlt_f32_e32 vcc, s13, v7
	v_pk_add_f32 v[4:5], v[4:5], 1.0 op_sel_hi:[1,0]
	v_cndmask_b32_e32 v7, v36, v8, vcc
	v_ldexp_f32 v8, v9, v10
	v_div_scale_f32 v9, s[20:21], v5, v5, 1.0
	v_rcp_f32_e32 v10, v9
	v_cmp_ngt_f32_e32 vcc, s19, v6
	v_cndmask_b32_e32 v8, 0, v8, vcc
	v_cmp_nlt_f32_e32 vcc, s13, v6
	v_cndmask_b32_e32 v6, v36, v8, vcc
	v_fma_f32 v8, -v9, v10, 1.0
	v_fmac_f32_e32 v10, v8, v10
	v_div_scale_f32 v8, vcc, 1.0, v5, 1.0
	v_mul_f32_e32 v11, v8, v10
	v_fma_f32 v19, -v9, v11, v8
	v_fmac_f32_e32 v11, v19, v10
	v_fma_f32 v8, -v9, v11, v8
	v_div_scale_f32 v9, s[20:21], v4, v4, 1.0
	v_rcp_f32_e32 v19, v9
	v_div_fmas_f32 v8, v8, v10, v11
	v_div_fixup_f32 v5, v8, v5, 1.0
	v_pk_add_f32 v[6:7], v[6:7], 1.0 op_sel_hi:[1,0]
	v_fma_f32 v8, -v9, v19, 1.0
	v_fmac_f32_e32 v19, v8, v19
	v_div_scale_f32 v8, vcc, 1.0, v4, 1.0
	v_mul_f32_e32 v10, v8, v19
	v_fma_f32 v11, -v9, v10, v8
	v_fmac_f32_e32 v10, v11, v19
	v_fma_f32 v8, -v9, v10, v8
	v_div_scale_f32 v9, s[20:21], v7, v7, 1.0
	v_rcp_f32_e32 v11, v9
	v_div_fmas_f32 v8, v8, v19, v10
	v_div_fixup_f32 v4, v8, v4, 1.0
	v_pk_mul_f32 v[2:3], v[2:3], v[4:5]
	v_fma_f32 v8, -v9, v11, 1.0
	v_fmac_f32_e32 v11, v8, v11
	v_div_scale_f32 v8, vcc, 1.0, v7, 1.0
	v_mul_f32_e32 v10, v8, v11
	v_fma_f32 v19, -v9, v10, v8
	v_fmac_f32_e32 v10, v19, v11
	v_fma_f32 v8, -v9, v10, v8
	v_div_scale_f32 v9, s[20:21], v6, v6, 1.0
	v_rcp_f32_e32 v19, v9
	v_div_fmas_f32 v8, v8, v11, v10
	v_div_fixup_f32 v7, v8, v7, 1.0
	v_lshlrev_b32_e32 v4, 2, v16
	v_fma_f32 v8, -v9, v19, 1.0
	v_fmac_f32_e32 v19, v8, v19
	v_div_scale_f32 v8, vcc, 1.0, v6, 1.0
	v_mul_f32_e32 v10, v8, v19
	v_fma_f32 v11, -v9, v10, v8
	v_fmac_f32_e32 v10, v11, v19
	v_fma_f32 v8, -v9, v10, v8
	v_div_fmas_f32 v8, v8, v19, v10
	v_div_fixup_f32 v6, v8, v6, 1.0
	v_pk_mul_f32 v[0:1], v[0:1], v[6:7]
	buffer_store_dwordx4 v[0:3], v4, s[4:7], 0 offen
	v_add_lshl_u32 v4, v18, s16, 2
	v_add_lshl_u32 v0, v17, s17, 2
	buffer_load_dwordx4 v[0:3], v0, s[8:11], 0 offen
	s_waitcnt vmcnt(0) lgkmcnt(0)
	v_pk_add_f32 v[2:3], v[14:15], v[2:3]
	buffer_load_dwordx4 v[4:7], v4, s[0:3], 0 offen
	v_pk_add_f32 v[0:1], v[12:13], v[0:1]
	s_waitcnt vmcnt(0)
	v_pk_add_f32 v[2:3], v[2:3], v[6:7]
	v_pk_add_f32 v[0:1], v[0:1], v[4:5]
	v_pk_mul_f32 v[4:5], v[2:3], s[12:13] op_sel_hi:[1,0]
	v_pk_fma_f32 v[4:5], v[2:3], v[4:5], s[14:15] op_sel_hi:[1,1,0] neg_lo:[1,0,0] neg_hi:[1,0,0]
	v_pk_mul_f32 v[4:5], v[2:3], v[4:5]
	v_mul_f32_e32 v6, 0x3fb8aa3b, v5
	v_fma_f32 v7, v5, s15, -v6
	v_rndne_f32_e32 v8, v6
	v_fmac_f32_e32 v7, 0x32a5705f, v5
	v_sub_f32_e32 v6, v6, v8
	v_add_f32_e32 v6, v6, v7
	v_exp_f32_e32 v9, v6
	v_cvt_i32_f32_e32 v8, v8
	v_pk_mul_f32 v[6:7], v[0:1], s[12:13] op_sel_hi:[1,0]
	v_pk_fma_f32 v[6:7], v[0:1], v[6:7], s[14:15] op_sel_hi:[1,1,0] neg_lo:[1,0,0] neg_hi:[1,0,0]
	v_cmp_ngt_f32_e32 vcc, s19, v5
	v_ldexp_f32 v8, v9, v8
	v_mul_f32_e32 v9, 0x3fb8aa3b, v4
	v_fma_f32 v10, v4, s15, -v9
	v_rndne_f32_e32 v11, v9
	v_fmac_f32_e32 v10, 0x32a5705f, v4
	v_sub_f32_e32 v9, v9, v11
	v_add_f32_e32 v9, v9, v10
	v_exp_f32_e32 v9, v9
	v_cvt_i32_f32_e32 v10, v11
	v_pk_mul_f32 v[6:7], v[0:1], v[6:7]
	v_cndmask_b32_e32 v8, 0, v8, vcc
	v_cmp_nlt_f32_e32 vcc, s13, v5
	v_cndmask_b32_e32 v5, v36, v8, vcc
	v_ldexp_f32 v8, v9, v10
	v_mul_f32_e32 v9, 0x3fb8aa3b, v7
	v_fma_f32 v10, v7, s15, -v9
	v_rndne_f32_e32 v11, v9
	v_fmac_f32_e32 v10, 0x32a5705f, v7
	v_sub_f32_e32 v9, v9, v11
	v_add_f32_e32 v9, v9, v10
	v_exp_f32_e32 v9, v9
	v_cvt_i32_f32_e32 v10, v11
	v_cmp_ngt_f32_e32 vcc, s19, v4
	v_cndmask_b32_e32 v8, 0, v8, vcc
	v_cmp_nlt_f32_e32 vcc, s13, v4
	v_cndmask_b32_e32 v4, v36, v8, vcc
	v_ldexp_f32 v8, v9, v10
	v_mul_f32_e32 v9, 0x3fb8aa3b, v6
	v_fma_f32 v10, v6, s15, -v9
	v_rndne_f32_e32 v11, v9
	v_fmac_f32_e32 v10, 0x32a5705f, v6
	v_sub_f32_e32 v9, v9, v11
	v_add_f32_e32 v9, v9, v10
	v_exp_f32_e32 v9, v9
	v_cvt_i32_f32_e32 v10, v11
	v_cmp_ngt_f32_e32 vcc, s19, v7
	v_cndmask_b32_e32 v8, 0, v8, vcc
	v_cmp_nlt_f32_e32 vcc, s13, v7
	v_pk_add_f32 v[4:5], v[4:5], 1.0 op_sel_hi:[1,0]
	v_cndmask_b32_e32 v7, v36, v8, vcc
	v_ldexp_f32 v8, v9, v10
	v_div_scale_f32 v9, s[0:1], v5, v5, 1.0
	v_rcp_f32_e32 v10, v9
	v_cmp_ngt_f32_e32 vcc, s19, v6
	v_cndmask_b32_e32 v8, 0, v8, vcc
	v_cmp_nlt_f32_e32 vcc, s13, v6
	v_cndmask_b32_e32 v6, v36, v8, vcc
	v_fma_f32 v8, -v9, v10, 1.0
	v_fmac_f32_e32 v10, v8, v10
	v_div_scale_f32 v8, vcc, 1.0, v5, 1.0
	v_mul_f32_e32 v11, v8, v10
	v_fma_f32 v12, -v9, v11, v8
	v_fmac_f32_e32 v11, v12, v10
	v_fma_f32 v8, -v9, v11, v8
	v_div_scale_f32 v9, s[0:1], v4, v4, 1.0
	v_rcp_f32_e32 v12, v9
	v_div_fmas_f32 v8, v8, v10, v11
	v_div_fixup_f32 v5, v8, v5, 1.0
	v_pk_add_f32 v[6:7], v[6:7], 1.0 op_sel_hi:[1,0]
	v_fma_f32 v8, -v9, v12, 1.0
	v_fmac_f32_e32 v12, v8, v12
	v_div_scale_f32 v8, vcc, 1.0, v4, 1.0
	v_mul_f32_e32 v10, v8, v12
	v_fma_f32 v11, -v9, v10, v8
	v_fmac_f32_e32 v10, v11, v12
	v_fma_f32 v8, -v9, v10, v8
	v_div_scale_f32 v9, s[0:1], v7, v7, 1.0
	v_rcp_f32_e32 v11, v9
	v_div_fmas_f32 v8, v8, v12, v10
	v_div_fixup_f32 v4, v8, v4, 1.0
	v_pk_mul_f32 v[2:3], v[2:3], v[4:5]
	v_fma_f32 v8, -v9, v11, 1.0
	v_fmac_f32_e32 v11, v8, v11
	v_div_scale_f32 v8, vcc, 1.0, v7, 1.0
	v_mul_f32_e32 v10, v8, v11
	v_fma_f32 v12, -v9, v10, v8
	v_fmac_f32_e32 v10, v12, v11
	v_fma_f32 v8, -v9, v10, v8
	v_div_scale_f32 v9, s[0:1], v6, v6, 1.0
	v_rcp_f32_e32 v12, v9
	v_div_fmas_f32 v8, v8, v11, v10
	v_div_fixup_f32 v7, v8, v7, 1.0
	v_add_lshl_u32 v4, v16, s18, 2
	v_fma_f32 v8, -v9, v12, 1.0
	v_fmac_f32_e32 v12, v8, v12
	v_div_scale_f32 v8, vcc, 1.0, v6, 1.0
	v_mul_f32_e32 v10, v8, v12
	v_fma_f32 v11, -v9, v10, v8
	v_fmac_f32_e32 v10, v11, v12
	v_fma_f32 v8, -v9, v10, v8
	v_div_fmas_f32 v8, v8, v12, v10
	v_div_fixup_f32 v6, v8, v6, 1.0
	v_pk_mul_f32 v[0:1], v[0:1], v[6:7]
	buffer_store_dwordx4 v[0:3], v4, s[4:7], 0 offen
	s_endpgm
	.section	.rodata,"a",@progbits
	.p2align	6, 0x0
	.amdhsa_kernel _ZN2ck51kernel_gemm_multiple_d_xdl_cshuffle_lds_direct_loadINS_48GridwiseGemmMultipleD_Xdl_CShuffle_LdsDirectLoadINS_13tensor_layout4gemm8RowMajorENS3_11ColumnMajorENS_5TupleIJS4_S4_EEES4_fffffNS6_IJffEEEfNS_16tensor_operation12element_wise11PassThroughESB_NSA_14AddAddFastGeluELNS_25InMemoryDataOperationEnumE0ELNS9_6device18GemmSpecializationE0ELi1ELi64ELi64ELi64ELi64ELi8ELi8ELi32ELi32ELi2ELi2ENS_8SequenceIJLi8ELi1ELi8EEEENSG_IJLi1ELi0ELi2EEEELi2ELi1ELi0ESH_SI_Li2ELi1ELi0ELi1ELi1ENSG_IJLi1ELi8ELi1ELi8EEEELi4ELNS_13LoopSchedulerE0ELNS_15PipelineVersionE2EfEEffNS6_IJPKfSO_EEEfSB_SB_SC_NS_16TensorDescriptorINS6_IJNS_5EmbedINS6_IJiiEEENS6_IJiNS_17integral_constantIiLi1EEEEEELb0EEENS_11PassThroughIiEESY_NS_7UnMergeINS6_IJiNST_IiLi8EEEEEELb0EEESY_EEENS6_IJNSG_IJLi0EEEENSG_IJLi1EEEENSG_IJLi2EEEENSG_IJLi4EEEENSG_IJLi3EEEEEEENS6_IJNSG_IJLi1ELi2EEEES18_S17_NSG_IJLi5ELi6EEEENSG_IJLi7EEEEEEENSG_IJLi5ELi7ELi6EEEElEES1F_NS6_IJNSQ_INS6_IJSW_SY_SY_NSZ_INS6_IJiNST_IiLi64EEEEEELb0EEES1I_EEENS6_IJS14_S15_S16_S18_S17_EEENS6_IJS1A_S18_S17_S1B_NSG_IJLi7ELi8EEEEEEENSG_IJLi5ELi6ELi7ELi8EEEElEES1O_EEES1O_NS_31BlockToCTileMap_M00_N0_M01AdaptILi64ELi64ENSQ_INS6_IJSW_SY_SY_EEENS6_IJS14_S15_S16_EEENS6_IJS1A_S18_S17_EEENSG_IJLi3ELi4EEEElEEiEELb0ELi2EEEvPKT0_PKT1_T2_PT3_T4_T5_T6_T7_T8_T9_T10_T11_
		.amdhsa_group_segment_fixed_size 32768
		.amdhsa_private_segment_fixed_size 0
		.amdhsa_kernarg_size 364
		.amdhsa_user_sgpr_count 6
		.amdhsa_user_sgpr_private_segment_buffer 1
		.amdhsa_user_sgpr_dispatch_ptr 0
		.amdhsa_user_sgpr_queue_ptr 0
		.amdhsa_user_sgpr_kernarg_segment_ptr 1
		.amdhsa_user_sgpr_dispatch_id 0
		.amdhsa_user_sgpr_flat_scratch_init 0
		.amdhsa_user_sgpr_kernarg_preload_length 0
		.amdhsa_user_sgpr_kernarg_preload_offset 0
		.amdhsa_user_sgpr_private_segment_size 0
		.amdhsa_uses_dynamic_stack 0
		.amdhsa_system_sgpr_private_segment_wavefront_offset 0
		.amdhsa_system_sgpr_workgroup_id_x 1
		.amdhsa_system_sgpr_workgroup_id_y 0
		.amdhsa_system_sgpr_workgroup_id_z 0
		.amdhsa_system_sgpr_workgroup_info 0
		.amdhsa_system_vgpr_workitem_id 0
		.amdhsa_next_free_vgpr 151
		.amdhsa_next_free_sgpr 27
		.amdhsa_accum_offset 152
		.amdhsa_reserve_vcc 1
		.amdhsa_reserve_flat_scratch 0
		.amdhsa_float_round_mode_32 0
		.amdhsa_float_round_mode_16_64 0
		.amdhsa_float_denorm_mode_32 3
		.amdhsa_float_denorm_mode_16_64 3
		.amdhsa_dx10_clamp 1
		.amdhsa_ieee_mode 1
		.amdhsa_fp16_overflow 0
		.amdhsa_tg_split 0
		.amdhsa_exception_fp_ieee_invalid_op 0
		.amdhsa_exception_fp_denorm_src 0
		.amdhsa_exception_fp_ieee_div_zero 0
		.amdhsa_exception_fp_ieee_overflow 0
		.amdhsa_exception_fp_ieee_underflow 0
		.amdhsa_exception_fp_ieee_inexact 0
		.amdhsa_exception_int_div_zero 0
	.end_amdhsa_kernel
	.section	.text._ZN2ck51kernel_gemm_multiple_d_xdl_cshuffle_lds_direct_loadINS_48GridwiseGemmMultipleD_Xdl_CShuffle_LdsDirectLoadINS_13tensor_layout4gemm8RowMajorENS3_11ColumnMajorENS_5TupleIJS4_S4_EEES4_fffffNS6_IJffEEEfNS_16tensor_operation12element_wise11PassThroughESB_NSA_14AddAddFastGeluELNS_25InMemoryDataOperationEnumE0ELNS9_6device18GemmSpecializationE0ELi1ELi64ELi64ELi64ELi64ELi8ELi8ELi32ELi32ELi2ELi2ENS_8SequenceIJLi8ELi1ELi8EEEENSG_IJLi1ELi0ELi2EEEELi2ELi1ELi0ESH_SI_Li2ELi1ELi0ELi1ELi1ENSG_IJLi1ELi8ELi1ELi8EEEELi4ELNS_13LoopSchedulerE0ELNS_15PipelineVersionE2EfEEffNS6_IJPKfSO_EEEfSB_SB_SC_NS_16TensorDescriptorINS6_IJNS_5EmbedINS6_IJiiEEENS6_IJiNS_17integral_constantIiLi1EEEEEELb0EEENS_11PassThroughIiEESY_NS_7UnMergeINS6_IJiNST_IiLi8EEEEEELb0EEESY_EEENS6_IJNSG_IJLi0EEEENSG_IJLi1EEEENSG_IJLi2EEEENSG_IJLi4EEEENSG_IJLi3EEEEEEENS6_IJNSG_IJLi1ELi2EEEES18_S17_NSG_IJLi5ELi6EEEENSG_IJLi7EEEEEEENSG_IJLi5ELi7ELi6EEEElEES1F_NS6_IJNSQ_INS6_IJSW_SY_SY_NSZ_INS6_IJiNST_IiLi64EEEEEELb0EEES1I_EEENS6_IJS14_S15_S16_S18_S17_EEENS6_IJS1A_S18_S17_S1B_NSG_IJLi7ELi8EEEEEEENSG_IJLi5ELi6ELi7ELi8EEEElEES1O_EEES1O_NS_31BlockToCTileMap_M00_N0_M01AdaptILi64ELi64ENSQ_INS6_IJSW_SY_SY_EEENS6_IJS14_S15_S16_EEENS6_IJS1A_S18_S17_EEENSG_IJLi3ELi4EEEElEEiEELb0ELi2EEEvPKT0_PKT1_T2_PT3_T4_T5_T6_T7_T8_T9_T10_T11_,"axG",@progbits,_ZN2ck51kernel_gemm_multiple_d_xdl_cshuffle_lds_direct_loadINS_48GridwiseGemmMultipleD_Xdl_CShuffle_LdsDirectLoadINS_13tensor_layout4gemm8RowMajorENS3_11ColumnMajorENS_5TupleIJS4_S4_EEES4_fffffNS6_IJffEEEfNS_16tensor_operation12element_wise11PassThroughESB_NSA_14AddAddFastGeluELNS_25InMemoryDataOperationEnumE0ELNS9_6device18GemmSpecializationE0ELi1ELi64ELi64ELi64ELi64ELi8ELi8ELi32ELi32ELi2ELi2ENS_8SequenceIJLi8ELi1ELi8EEEENSG_IJLi1ELi0ELi2EEEELi2ELi1ELi0ESH_SI_Li2ELi1ELi0ELi1ELi1ENSG_IJLi1ELi8ELi1ELi8EEEELi4ELNS_13LoopSchedulerE0ELNS_15PipelineVersionE2EfEEffNS6_IJPKfSO_EEEfSB_SB_SC_NS_16TensorDescriptorINS6_IJNS_5EmbedINS6_IJiiEEENS6_IJiNS_17integral_constantIiLi1EEEEEELb0EEENS_11PassThroughIiEESY_NS_7UnMergeINS6_IJiNST_IiLi8EEEEEELb0EEESY_EEENS6_IJNSG_IJLi0EEEENSG_IJLi1EEEENSG_IJLi2EEEENSG_IJLi4EEEENSG_IJLi3EEEEEEENS6_IJNSG_IJLi1ELi2EEEES18_S17_NSG_IJLi5ELi6EEEENSG_IJLi7EEEEEEENSG_IJLi5ELi7ELi6EEEElEES1F_NS6_IJNSQ_INS6_IJSW_SY_SY_NSZ_INS6_IJiNST_IiLi64EEEEEELb0EEES1I_EEENS6_IJS14_S15_S16_S18_S17_EEENS6_IJS1A_S18_S17_S1B_NSG_IJLi7ELi8EEEEEEENSG_IJLi5ELi6ELi7ELi8EEEElEES1O_EEES1O_NS_31BlockToCTileMap_M00_N0_M01AdaptILi64ELi64ENSQ_INS6_IJSW_SY_SY_EEENS6_IJS14_S15_S16_EEENS6_IJS1A_S18_S17_EEENSG_IJLi3ELi4EEEElEEiEELb0ELi2EEEvPKT0_PKT1_T2_PT3_T4_T5_T6_T7_T8_T9_T10_T11_,comdat
.Lfunc_end2:
	.size	_ZN2ck51kernel_gemm_multiple_d_xdl_cshuffle_lds_direct_loadINS_48GridwiseGemmMultipleD_Xdl_CShuffle_LdsDirectLoadINS_13tensor_layout4gemm8RowMajorENS3_11ColumnMajorENS_5TupleIJS4_S4_EEES4_fffffNS6_IJffEEEfNS_16tensor_operation12element_wise11PassThroughESB_NSA_14AddAddFastGeluELNS_25InMemoryDataOperationEnumE0ELNS9_6device18GemmSpecializationE0ELi1ELi64ELi64ELi64ELi64ELi8ELi8ELi32ELi32ELi2ELi2ENS_8SequenceIJLi8ELi1ELi8EEEENSG_IJLi1ELi0ELi2EEEELi2ELi1ELi0ESH_SI_Li2ELi1ELi0ELi1ELi1ENSG_IJLi1ELi8ELi1ELi8EEEELi4ELNS_13LoopSchedulerE0ELNS_15PipelineVersionE2EfEEffNS6_IJPKfSO_EEEfSB_SB_SC_NS_16TensorDescriptorINS6_IJNS_5EmbedINS6_IJiiEEENS6_IJiNS_17integral_constantIiLi1EEEEEELb0EEENS_11PassThroughIiEESY_NS_7UnMergeINS6_IJiNST_IiLi8EEEEEELb0EEESY_EEENS6_IJNSG_IJLi0EEEENSG_IJLi1EEEENSG_IJLi2EEEENSG_IJLi4EEEENSG_IJLi3EEEEEEENS6_IJNSG_IJLi1ELi2EEEES18_S17_NSG_IJLi5ELi6EEEENSG_IJLi7EEEEEEENSG_IJLi5ELi7ELi6EEEElEES1F_NS6_IJNSQ_INS6_IJSW_SY_SY_NSZ_INS6_IJiNST_IiLi64EEEEEELb0EEES1I_EEENS6_IJS14_S15_S16_S18_S17_EEENS6_IJS1A_S18_S17_S1B_NSG_IJLi7ELi8EEEEEEENSG_IJLi5ELi6ELi7ELi8EEEElEES1O_EEES1O_NS_31BlockToCTileMap_M00_N0_M01AdaptILi64ELi64ENSQ_INS6_IJSW_SY_SY_EEENS6_IJS14_S15_S16_EEENS6_IJS1A_S18_S17_EEENSG_IJLi3ELi4EEEElEEiEELb0ELi2EEEvPKT0_PKT1_T2_PT3_T4_T5_T6_T7_T8_T9_T10_T11_, .Lfunc_end2-_ZN2ck51kernel_gemm_multiple_d_xdl_cshuffle_lds_direct_loadINS_48GridwiseGemmMultipleD_Xdl_CShuffle_LdsDirectLoadINS_13tensor_layout4gemm8RowMajorENS3_11ColumnMajorENS_5TupleIJS4_S4_EEES4_fffffNS6_IJffEEEfNS_16tensor_operation12element_wise11PassThroughESB_NSA_14AddAddFastGeluELNS_25InMemoryDataOperationEnumE0ELNS9_6device18GemmSpecializationE0ELi1ELi64ELi64ELi64ELi64ELi8ELi8ELi32ELi32ELi2ELi2ENS_8SequenceIJLi8ELi1ELi8EEEENSG_IJLi1ELi0ELi2EEEELi2ELi1ELi0ESH_SI_Li2ELi1ELi0ELi1ELi1ENSG_IJLi1ELi8ELi1ELi8EEEELi4ELNS_13LoopSchedulerE0ELNS_15PipelineVersionE2EfEEffNS6_IJPKfSO_EEEfSB_SB_SC_NS_16TensorDescriptorINS6_IJNS_5EmbedINS6_IJiiEEENS6_IJiNS_17integral_constantIiLi1EEEEEELb0EEENS_11PassThroughIiEESY_NS_7UnMergeINS6_IJiNST_IiLi8EEEEEELb0EEESY_EEENS6_IJNSG_IJLi0EEEENSG_IJLi1EEEENSG_IJLi2EEEENSG_IJLi4EEEENSG_IJLi3EEEEEEENS6_IJNSG_IJLi1ELi2EEEES18_S17_NSG_IJLi5ELi6EEEENSG_IJLi7EEEEEEENSG_IJLi5ELi7ELi6EEEElEES1F_NS6_IJNSQ_INS6_IJSW_SY_SY_NSZ_INS6_IJiNST_IiLi64EEEEEELb0EEES1I_EEENS6_IJS14_S15_S16_S18_S17_EEENS6_IJS1A_S18_S17_S1B_NSG_IJLi7ELi8EEEEEEENSG_IJLi5ELi6ELi7ELi8EEEElEES1O_EEES1O_NS_31BlockToCTileMap_M00_N0_M01AdaptILi64ELi64ENSQ_INS6_IJSW_SY_SY_EEENS6_IJS14_S15_S16_EEENS6_IJS1A_S18_S17_EEENSG_IJLi3ELi4EEEElEEiEELb0ELi2EEEvPKT0_PKT1_T2_PT3_T4_T5_T6_T7_T8_T9_T10_T11_
                                        ; -- End function
	.section	.AMDGPU.csdata,"",@progbits
; Kernel info:
; codeLenInByte = 17416
; NumSgprs: 31
; NumVgprs: 151
; NumAgprs: 0
; TotalNumVgprs: 151
; ScratchSize: 0
; MemoryBound: 0
; FloatMode: 240
; IeeeMode: 1
; LDSByteSize: 32768 bytes/workgroup (compile time only)
; SGPRBlocks: 3
; VGPRBlocks: 18
; NumSGPRsForWavesPerEU: 31
; NumVGPRsForWavesPerEU: 151
; AccumOffset: 152
; Occupancy: 1
; WaveLimiterHint : 0
; COMPUTE_PGM_RSRC2:SCRATCH_EN: 0
; COMPUTE_PGM_RSRC2:USER_SGPR: 6
; COMPUTE_PGM_RSRC2:TRAP_HANDLER: 0
; COMPUTE_PGM_RSRC2:TGID_X_EN: 1
; COMPUTE_PGM_RSRC2:TGID_Y_EN: 0
; COMPUTE_PGM_RSRC2:TGID_Z_EN: 0
; COMPUTE_PGM_RSRC2:TIDIG_COMP_CNT: 0
; COMPUTE_PGM_RSRC3_GFX90A:ACCUM_OFFSET: 37
; COMPUTE_PGM_RSRC3_GFX90A:TG_SPLIT: 0
	.section	.text._ZN2ck51kernel_gemm_multiple_d_xdl_cshuffle_lds_direct_loadINS_48GridwiseGemmMultipleD_Xdl_CShuffle_LdsDirectLoadINS_13tensor_layout4gemm8RowMajorENS3_11ColumnMajorENS_5TupleIJS4_S4_EEES4_fffffNS6_IJffEEEfNS_16tensor_operation12element_wise11PassThroughESB_NSA_14AddAddFastGeluELNS_25InMemoryDataOperationEnumE0ELNS9_6device18GemmSpecializationE0ELi1ELi64ELi64ELi64ELi64ELi8ELi8ELi16ELi16ELi4ELi2ENS_8SequenceIJLi8ELi1ELi8EEEENSG_IJLi1ELi0ELi2EEEELi2ELi1ELi0ESH_SI_Li2ELi1ELi0ELi2ELi2ENSG_IJLi1ELi8ELi1ELi8EEEELi4ELNS_13LoopSchedulerE0ELNS_15PipelineVersionE2EfEEffNS6_IJPKfSO_EEEfSB_SB_SC_NS_16TensorDescriptorINS6_IJNS_5EmbedINS6_IJiiEEENS6_IJiNS_17integral_constantIiLi1EEEEEELb0EEENS_11PassThroughIiEESY_NS_7UnMergeINS6_IJiNST_IiLi8EEEEEELb0EEESY_EEENS6_IJNSG_IJLi0EEEENSG_IJLi1EEEENSG_IJLi2EEEENSG_IJLi4EEEENSG_IJLi3EEEEEEENS6_IJNSG_IJLi1ELi2EEEES18_S17_NSG_IJLi5ELi6EEEENSG_IJLi7EEEEEEENSG_IJLi5ELi7ELi6EEEElEES1F_NS6_IJNSQ_INS6_IJSW_SY_SY_NSZ_INS6_IJiNST_IiLi64EEEEEELb0EEES1I_EEENS6_IJS14_S15_S16_S18_S17_EEENS6_IJS1A_S18_S17_S1B_NSG_IJLi7ELi8EEEEEEENSG_IJLi5ELi6ELi7ELi8EEEElEES1O_EEES1O_NS_31BlockToCTileMap_M00_N0_M01AdaptILi64ELi64ENSQ_INS6_IJSW_SY_SY_EEENS6_IJS14_S15_S16_EEENS6_IJS1A_S18_S17_EEENSG_IJLi3ELi4EEEElEEiEELb1ELi2EEEvPKT0_PKT1_T2_PT3_T4_T5_T6_T7_T8_T9_T10_T11_,"axG",@progbits,_ZN2ck51kernel_gemm_multiple_d_xdl_cshuffle_lds_direct_loadINS_48GridwiseGemmMultipleD_Xdl_CShuffle_LdsDirectLoadINS_13tensor_layout4gemm8RowMajorENS3_11ColumnMajorENS_5TupleIJS4_S4_EEES4_fffffNS6_IJffEEEfNS_16tensor_operation12element_wise11PassThroughESB_NSA_14AddAddFastGeluELNS_25InMemoryDataOperationEnumE0ELNS9_6device18GemmSpecializationE0ELi1ELi64ELi64ELi64ELi64ELi8ELi8ELi16ELi16ELi4ELi2ENS_8SequenceIJLi8ELi1ELi8EEEENSG_IJLi1ELi0ELi2EEEELi2ELi1ELi0ESH_SI_Li2ELi1ELi0ELi2ELi2ENSG_IJLi1ELi8ELi1ELi8EEEELi4ELNS_13LoopSchedulerE0ELNS_15PipelineVersionE2EfEEffNS6_IJPKfSO_EEEfSB_SB_SC_NS_16TensorDescriptorINS6_IJNS_5EmbedINS6_IJiiEEENS6_IJiNS_17integral_constantIiLi1EEEEEELb0EEENS_11PassThroughIiEESY_NS_7UnMergeINS6_IJiNST_IiLi8EEEEEELb0EEESY_EEENS6_IJNSG_IJLi0EEEENSG_IJLi1EEEENSG_IJLi2EEEENSG_IJLi4EEEENSG_IJLi3EEEEEEENS6_IJNSG_IJLi1ELi2EEEES18_S17_NSG_IJLi5ELi6EEEENSG_IJLi7EEEEEEENSG_IJLi5ELi7ELi6EEEElEES1F_NS6_IJNSQ_INS6_IJSW_SY_SY_NSZ_INS6_IJiNST_IiLi64EEEEEELb0EEES1I_EEENS6_IJS14_S15_S16_S18_S17_EEENS6_IJS1A_S18_S17_S1B_NSG_IJLi7ELi8EEEEEEENSG_IJLi5ELi6ELi7ELi8EEEElEES1O_EEES1O_NS_31BlockToCTileMap_M00_N0_M01AdaptILi64ELi64ENSQ_INS6_IJSW_SY_SY_EEENS6_IJS14_S15_S16_EEENS6_IJS1A_S18_S17_EEENSG_IJLi3ELi4EEEElEEiEELb1ELi2EEEvPKT0_PKT1_T2_PT3_T4_T5_T6_T7_T8_T9_T10_T11_,comdat
	.protected	_ZN2ck51kernel_gemm_multiple_d_xdl_cshuffle_lds_direct_loadINS_48GridwiseGemmMultipleD_Xdl_CShuffle_LdsDirectLoadINS_13tensor_layout4gemm8RowMajorENS3_11ColumnMajorENS_5TupleIJS4_S4_EEES4_fffffNS6_IJffEEEfNS_16tensor_operation12element_wise11PassThroughESB_NSA_14AddAddFastGeluELNS_25InMemoryDataOperationEnumE0ELNS9_6device18GemmSpecializationE0ELi1ELi64ELi64ELi64ELi64ELi8ELi8ELi16ELi16ELi4ELi2ENS_8SequenceIJLi8ELi1ELi8EEEENSG_IJLi1ELi0ELi2EEEELi2ELi1ELi0ESH_SI_Li2ELi1ELi0ELi2ELi2ENSG_IJLi1ELi8ELi1ELi8EEEELi4ELNS_13LoopSchedulerE0ELNS_15PipelineVersionE2EfEEffNS6_IJPKfSO_EEEfSB_SB_SC_NS_16TensorDescriptorINS6_IJNS_5EmbedINS6_IJiiEEENS6_IJiNS_17integral_constantIiLi1EEEEEELb0EEENS_11PassThroughIiEESY_NS_7UnMergeINS6_IJiNST_IiLi8EEEEEELb0EEESY_EEENS6_IJNSG_IJLi0EEEENSG_IJLi1EEEENSG_IJLi2EEEENSG_IJLi4EEEENSG_IJLi3EEEEEEENS6_IJNSG_IJLi1ELi2EEEES18_S17_NSG_IJLi5ELi6EEEENSG_IJLi7EEEEEEENSG_IJLi5ELi7ELi6EEEElEES1F_NS6_IJNSQ_INS6_IJSW_SY_SY_NSZ_INS6_IJiNST_IiLi64EEEEEELb0EEES1I_EEENS6_IJS14_S15_S16_S18_S17_EEENS6_IJS1A_S18_S17_S1B_NSG_IJLi7ELi8EEEEEEENSG_IJLi5ELi6ELi7ELi8EEEElEES1O_EEES1O_NS_31BlockToCTileMap_M00_N0_M01AdaptILi64ELi64ENSQ_INS6_IJSW_SY_SY_EEENS6_IJS14_S15_S16_EEENS6_IJS1A_S18_S17_EEENSG_IJLi3ELi4EEEElEEiEELb1ELi2EEEvPKT0_PKT1_T2_PT3_T4_T5_T6_T7_T8_T9_T10_T11_ ; -- Begin function _ZN2ck51kernel_gemm_multiple_d_xdl_cshuffle_lds_direct_loadINS_48GridwiseGemmMultipleD_Xdl_CShuffle_LdsDirectLoadINS_13tensor_layout4gemm8RowMajorENS3_11ColumnMajorENS_5TupleIJS4_S4_EEES4_fffffNS6_IJffEEEfNS_16tensor_operation12element_wise11PassThroughESB_NSA_14AddAddFastGeluELNS_25InMemoryDataOperationEnumE0ELNS9_6device18GemmSpecializationE0ELi1ELi64ELi64ELi64ELi64ELi8ELi8ELi16ELi16ELi4ELi2ENS_8SequenceIJLi8ELi1ELi8EEEENSG_IJLi1ELi0ELi2EEEELi2ELi1ELi0ESH_SI_Li2ELi1ELi0ELi2ELi2ENSG_IJLi1ELi8ELi1ELi8EEEELi4ELNS_13LoopSchedulerE0ELNS_15PipelineVersionE2EfEEffNS6_IJPKfSO_EEEfSB_SB_SC_NS_16TensorDescriptorINS6_IJNS_5EmbedINS6_IJiiEEENS6_IJiNS_17integral_constantIiLi1EEEEEELb0EEENS_11PassThroughIiEESY_NS_7UnMergeINS6_IJiNST_IiLi8EEEEEELb0EEESY_EEENS6_IJNSG_IJLi0EEEENSG_IJLi1EEEENSG_IJLi2EEEENSG_IJLi4EEEENSG_IJLi3EEEEEEENS6_IJNSG_IJLi1ELi2EEEES18_S17_NSG_IJLi5ELi6EEEENSG_IJLi7EEEEEEENSG_IJLi5ELi7ELi6EEEElEES1F_NS6_IJNSQ_INS6_IJSW_SY_SY_NSZ_INS6_IJiNST_IiLi64EEEEEELb0EEES1I_EEENS6_IJS14_S15_S16_S18_S17_EEENS6_IJS1A_S18_S17_S1B_NSG_IJLi7ELi8EEEEEEENSG_IJLi5ELi6ELi7ELi8EEEElEES1O_EEES1O_NS_31BlockToCTileMap_M00_N0_M01AdaptILi64ELi64ENSQ_INS6_IJSW_SY_SY_EEENS6_IJS14_S15_S16_EEENS6_IJS1A_S18_S17_EEENSG_IJLi3ELi4EEEElEEiEELb1ELi2EEEvPKT0_PKT1_T2_PT3_T4_T5_T6_T7_T8_T9_T10_T11_
	.globl	_ZN2ck51kernel_gemm_multiple_d_xdl_cshuffle_lds_direct_loadINS_48GridwiseGemmMultipleD_Xdl_CShuffle_LdsDirectLoadINS_13tensor_layout4gemm8RowMajorENS3_11ColumnMajorENS_5TupleIJS4_S4_EEES4_fffffNS6_IJffEEEfNS_16tensor_operation12element_wise11PassThroughESB_NSA_14AddAddFastGeluELNS_25InMemoryDataOperationEnumE0ELNS9_6device18GemmSpecializationE0ELi1ELi64ELi64ELi64ELi64ELi8ELi8ELi16ELi16ELi4ELi2ENS_8SequenceIJLi8ELi1ELi8EEEENSG_IJLi1ELi0ELi2EEEELi2ELi1ELi0ESH_SI_Li2ELi1ELi0ELi2ELi2ENSG_IJLi1ELi8ELi1ELi8EEEELi4ELNS_13LoopSchedulerE0ELNS_15PipelineVersionE2EfEEffNS6_IJPKfSO_EEEfSB_SB_SC_NS_16TensorDescriptorINS6_IJNS_5EmbedINS6_IJiiEEENS6_IJiNS_17integral_constantIiLi1EEEEEELb0EEENS_11PassThroughIiEESY_NS_7UnMergeINS6_IJiNST_IiLi8EEEEEELb0EEESY_EEENS6_IJNSG_IJLi0EEEENSG_IJLi1EEEENSG_IJLi2EEEENSG_IJLi4EEEENSG_IJLi3EEEEEEENS6_IJNSG_IJLi1ELi2EEEES18_S17_NSG_IJLi5ELi6EEEENSG_IJLi7EEEEEEENSG_IJLi5ELi7ELi6EEEElEES1F_NS6_IJNSQ_INS6_IJSW_SY_SY_NSZ_INS6_IJiNST_IiLi64EEEEEELb0EEES1I_EEENS6_IJS14_S15_S16_S18_S17_EEENS6_IJS1A_S18_S17_S1B_NSG_IJLi7ELi8EEEEEEENSG_IJLi5ELi6ELi7ELi8EEEElEES1O_EEES1O_NS_31BlockToCTileMap_M00_N0_M01AdaptILi64ELi64ENSQ_INS6_IJSW_SY_SY_EEENS6_IJS14_S15_S16_EEENS6_IJS1A_S18_S17_EEENSG_IJLi3ELi4EEEElEEiEELb1ELi2EEEvPKT0_PKT1_T2_PT3_T4_T5_T6_T7_T8_T9_T10_T11_
	.p2align	8
	.type	_ZN2ck51kernel_gemm_multiple_d_xdl_cshuffle_lds_direct_loadINS_48GridwiseGemmMultipleD_Xdl_CShuffle_LdsDirectLoadINS_13tensor_layout4gemm8RowMajorENS3_11ColumnMajorENS_5TupleIJS4_S4_EEES4_fffffNS6_IJffEEEfNS_16tensor_operation12element_wise11PassThroughESB_NSA_14AddAddFastGeluELNS_25InMemoryDataOperationEnumE0ELNS9_6device18GemmSpecializationE0ELi1ELi64ELi64ELi64ELi64ELi8ELi8ELi16ELi16ELi4ELi2ENS_8SequenceIJLi8ELi1ELi8EEEENSG_IJLi1ELi0ELi2EEEELi2ELi1ELi0ESH_SI_Li2ELi1ELi0ELi2ELi2ENSG_IJLi1ELi8ELi1ELi8EEEELi4ELNS_13LoopSchedulerE0ELNS_15PipelineVersionE2EfEEffNS6_IJPKfSO_EEEfSB_SB_SC_NS_16TensorDescriptorINS6_IJNS_5EmbedINS6_IJiiEEENS6_IJiNS_17integral_constantIiLi1EEEEEELb0EEENS_11PassThroughIiEESY_NS_7UnMergeINS6_IJiNST_IiLi8EEEEEELb0EEESY_EEENS6_IJNSG_IJLi0EEEENSG_IJLi1EEEENSG_IJLi2EEEENSG_IJLi4EEEENSG_IJLi3EEEEEEENS6_IJNSG_IJLi1ELi2EEEES18_S17_NSG_IJLi5ELi6EEEENSG_IJLi7EEEEEEENSG_IJLi5ELi7ELi6EEEElEES1F_NS6_IJNSQ_INS6_IJSW_SY_SY_NSZ_INS6_IJiNST_IiLi64EEEEEELb0EEES1I_EEENS6_IJS14_S15_S16_S18_S17_EEENS6_IJS1A_S18_S17_S1B_NSG_IJLi7ELi8EEEEEEENSG_IJLi5ELi6ELi7ELi8EEEElEES1O_EEES1O_NS_31BlockToCTileMap_M00_N0_M01AdaptILi64ELi64ENSQ_INS6_IJSW_SY_SY_EEENS6_IJS14_S15_S16_EEENS6_IJS1A_S18_S17_EEENSG_IJLi3ELi4EEEElEEiEELb1ELi2EEEvPKT0_PKT1_T2_PT3_T4_T5_T6_T7_T8_T9_T10_T11_,@function
_ZN2ck51kernel_gemm_multiple_d_xdl_cshuffle_lds_direct_loadINS_48GridwiseGemmMultipleD_Xdl_CShuffle_LdsDirectLoadINS_13tensor_layout4gemm8RowMajorENS3_11ColumnMajorENS_5TupleIJS4_S4_EEES4_fffffNS6_IJffEEEfNS_16tensor_operation12element_wise11PassThroughESB_NSA_14AddAddFastGeluELNS_25InMemoryDataOperationEnumE0ELNS9_6device18GemmSpecializationE0ELi1ELi64ELi64ELi64ELi64ELi8ELi8ELi16ELi16ELi4ELi2ENS_8SequenceIJLi8ELi1ELi8EEEENSG_IJLi1ELi0ELi2EEEELi2ELi1ELi0ESH_SI_Li2ELi1ELi0ELi2ELi2ENSG_IJLi1ELi8ELi1ELi8EEEELi4ELNS_13LoopSchedulerE0ELNS_15PipelineVersionE2EfEEffNS6_IJPKfSO_EEEfSB_SB_SC_NS_16TensorDescriptorINS6_IJNS_5EmbedINS6_IJiiEEENS6_IJiNS_17integral_constantIiLi1EEEEEELb0EEENS_11PassThroughIiEESY_NS_7UnMergeINS6_IJiNST_IiLi8EEEEEELb0EEESY_EEENS6_IJNSG_IJLi0EEEENSG_IJLi1EEEENSG_IJLi2EEEENSG_IJLi4EEEENSG_IJLi3EEEEEEENS6_IJNSG_IJLi1ELi2EEEES18_S17_NSG_IJLi5ELi6EEEENSG_IJLi7EEEEEEENSG_IJLi5ELi7ELi6EEEElEES1F_NS6_IJNSQ_INS6_IJSW_SY_SY_NSZ_INS6_IJiNST_IiLi64EEEEEELb0EEES1I_EEENS6_IJS14_S15_S16_S18_S17_EEENS6_IJS1A_S18_S17_S1B_NSG_IJLi7ELi8EEEEEEENSG_IJLi5ELi6ELi7ELi8EEEElEES1O_EEES1O_NS_31BlockToCTileMap_M00_N0_M01AdaptILi64ELi64ENSQ_INS6_IJSW_SY_SY_EEENS6_IJS14_S15_S16_EEENS6_IJS1A_S18_S17_EEENSG_IJLi3ELi4EEEElEEiEELb1ELi2EEEvPKT0_PKT1_T2_PT3_T4_T5_T6_T7_T8_T9_T10_T11_: ; @_ZN2ck51kernel_gemm_multiple_d_xdl_cshuffle_lds_direct_loadINS_48GridwiseGemmMultipleD_Xdl_CShuffle_LdsDirectLoadINS_13tensor_layout4gemm8RowMajorENS3_11ColumnMajorENS_5TupleIJS4_S4_EEES4_fffffNS6_IJffEEEfNS_16tensor_operation12element_wise11PassThroughESB_NSA_14AddAddFastGeluELNS_25InMemoryDataOperationEnumE0ELNS9_6device18GemmSpecializationE0ELi1ELi64ELi64ELi64ELi64ELi8ELi8ELi16ELi16ELi4ELi2ENS_8SequenceIJLi8ELi1ELi8EEEENSG_IJLi1ELi0ELi2EEEELi2ELi1ELi0ESH_SI_Li2ELi1ELi0ELi2ELi2ENSG_IJLi1ELi8ELi1ELi8EEEELi4ELNS_13LoopSchedulerE0ELNS_15PipelineVersionE2EfEEffNS6_IJPKfSO_EEEfSB_SB_SC_NS_16TensorDescriptorINS6_IJNS_5EmbedINS6_IJiiEEENS6_IJiNS_17integral_constantIiLi1EEEEEELb0EEENS_11PassThroughIiEESY_NS_7UnMergeINS6_IJiNST_IiLi8EEEEEELb0EEESY_EEENS6_IJNSG_IJLi0EEEENSG_IJLi1EEEENSG_IJLi2EEEENSG_IJLi4EEEENSG_IJLi3EEEEEEENS6_IJNSG_IJLi1ELi2EEEES18_S17_NSG_IJLi5ELi6EEEENSG_IJLi7EEEEEEENSG_IJLi5ELi7ELi6EEEElEES1F_NS6_IJNSQ_INS6_IJSW_SY_SY_NSZ_INS6_IJiNST_IiLi64EEEEEELb0EEES1I_EEENS6_IJS14_S15_S16_S18_S17_EEENS6_IJS1A_S18_S17_S1B_NSG_IJLi7ELi8EEEEEEENSG_IJLi5ELi6ELi7ELi8EEEElEES1O_EEES1O_NS_31BlockToCTileMap_M00_N0_M01AdaptILi64ELi64ENSQ_INS6_IJSW_SY_SY_EEENS6_IJS14_S15_S16_EEENS6_IJS1A_S18_S17_EEENSG_IJLi3ELi4EEEElEEiEELb1ELi2EEEvPKT0_PKT1_T2_PT3_T4_T5_T6_T7_T8_T9_T10_T11_
; %bb.0:
	s_endpgm
	.section	.rodata,"a",@progbits
	.p2align	6, 0x0
	.amdhsa_kernel _ZN2ck51kernel_gemm_multiple_d_xdl_cshuffle_lds_direct_loadINS_48GridwiseGemmMultipleD_Xdl_CShuffle_LdsDirectLoadINS_13tensor_layout4gemm8RowMajorENS3_11ColumnMajorENS_5TupleIJS4_S4_EEES4_fffffNS6_IJffEEEfNS_16tensor_operation12element_wise11PassThroughESB_NSA_14AddAddFastGeluELNS_25InMemoryDataOperationEnumE0ELNS9_6device18GemmSpecializationE0ELi1ELi64ELi64ELi64ELi64ELi8ELi8ELi16ELi16ELi4ELi2ENS_8SequenceIJLi8ELi1ELi8EEEENSG_IJLi1ELi0ELi2EEEELi2ELi1ELi0ESH_SI_Li2ELi1ELi0ELi2ELi2ENSG_IJLi1ELi8ELi1ELi8EEEELi4ELNS_13LoopSchedulerE0ELNS_15PipelineVersionE2EfEEffNS6_IJPKfSO_EEEfSB_SB_SC_NS_16TensorDescriptorINS6_IJNS_5EmbedINS6_IJiiEEENS6_IJiNS_17integral_constantIiLi1EEEEEELb0EEENS_11PassThroughIiEESY_NS_7UnMergeINS6_IJiNST_IiLi8EEEEEELb0EEESY_EEENS6_IJNSG_IJLi0EEEENSG_IJLi1EEEENSG_IJLi2EEEENSG_IJLi4EEEENSG_IJLi3EEEEEEENS6_IJNSG_IJLi1ELi2EEEES18_S17_NSG_IJLi5ELi6EEEENSG_IJLi7EEEEEEENSG_IJLi5ELi7ELi6EEEElEES1F_NS6_IJNSQ_INS6_IJSW_SY_SY_NSZ_INS6_IJiNST_IiLi64EEEEEELb0EEES1I_EEENS6_IJS14_S15_S16_S18_S17_EEENS6_IJS1A_S18_S17_S1B_NSG_IJLi7ELi8EEEEEEENSG_IJLi5ELi6ELi7ELi8EEEElEES1O_EEES1O_NS_31BlockToCTileMap_M00_N0_M01AdaptILi64ELi64ENSQ_INS6_IJSW_SY_SY_EEENS6_IJS14_S15_S16_EEENS6_IJS1A_S18_S17_EEENSG_IJLi3ELi4EEEElEEiEELb1ELi2EEEvPKT0_PKT1_T2_PT3_T4_T5_T6_T7_T8_T9_T10_T11_
		.amdhsa_group_segment_fixed_size 0
		.amdhsa_private_segment_fixed_size 0
		.amdhsa_kernarg_size 364
		.amdhsa_user_sgpr_count 6
		.amdhsa_user_sgpr_private_segment_buffer 1
		.amdhsa_user_sgpr_dispatch_ptr 0
		.amdhsa_user_sgpr_queue_ptr 0
		.amdhsa_user_sgpr_kernarg_segment_ptr 1
		.amdhsa_user_sgpr_dispatch_id 0
		.amdhsa_user_sgpr_flat_scratch_init 0
		.amdhsa_user_sgpr_kernarg_preload_length 0
		.amdhsa_user_sgpr_kernarg_preload_offset 0
		.amdhsa_user_sgpr_private_segment_size 0
		.amdhsa_uses_dynamic_stack 0
		.amdhsa_system_sgpr_private_segment_wavefront_offset 0
		.amdhsa_system_sgpr_workgroup_id_x 1
		.amdhsa_system_sgpr_workgroup_id_y 0
		.amdhsa_system_sgpr_workgroup_id_z 0
		.amdhsa_system_sgpr_workgroup_info 0
		.amdhsa_system_vgpr_workitem_id 0
		.amdhsa_next_free_vgpr 1
		.amdhsa_next_free_sgpr 0
		.amdhsa_accum_offset 4
		.amdhsa_reserve_vcc 0
		.amdhsa_reserve_flat_scratch 0
		.amdhsa_float_round_mode_32 0
		.amdhsa_float_round_mode_16_64 0
		.amdhsa_float_denorm_mode_32 3
		.amdhsa_float_denorm_mode_16_64 3
		.amdhsa_dx10_clamp 1
		.amdhsa_ieee_mode 1
		.amdhsa_fp16_overflow 0
		.amdhsa_tg_split 0
		.amdhsa_exception_fp_ieee_invalid_op 0
		.amdhsa_exception_fp_denorm_src 0
		.amdhsa_exception_fp_ieee_div_zero 0
		.amdhsa_exception_fp_ieee_overflow 0
		.amdhsa_exception_fp_ieee_underflow 0
		.amdhsa_exception_fp_ieee_inexact 0
		.amdhsa_exception_int_div_zero 0
	.end_amdhsa_kernel
	.section	.text._ZN2ck51kernel_gemm_multiple_d_xdl_cshuffle_lds_direct_loadINS_48GridwiseGemmMultipleD_Xdl_CShuffle_LdsDirectLoadINS_13tensor_layout4gemm8RowMajorENS3_11ColumnMajorENS_5TupleIJS4_S4_EEES4_fffffNS6_IJffEEEfNS_16tensor_operation12element_wise11PassThroughESB_NSA_14AddAddFastGeluELNS_25InMemoryDataOperationEnumE0ELNS9_6device18GemmSpecializationE0ELi1ELi64ELi64ELi64ELi64ELi8ELi8ELi16ELi16ELi4ELi2ENS_8SequenceIJLi8ELi1ELi8EEEENSG_IJLi1ELi0ELi2EEEELi2ELi1ELi0ESH_SI_Li2ELi1ELi0ELi2ELi2ENSG_IJLi1ELi8ELi1ELi8EEEELi4ELNS_13LoopSchedulerE0ELNS_15PipelineVersionE2EfEEffNS6_IJPKfSO_EEEfSB_SB_SC_NS_16TensorDescriptorINS6_IJNS_5EmbedINS6_IJiiEEENS6_IJiNS_17integral_constantIiLi1EEEEEELb0EEENS_11PassThroughIiEESY_NS_7UnMergeINS6_IJiNST_IiLi8EEEEEELb0EEESY_EEENS6_IJNSG_IJLi0EEEENSG_IJLi1EEEENSG_IJLi2EEEENSG_IJLi4EEEENSG_IJLi3EEEEEEENS6_IJNSG_IJLi1ELi2EEEES18_S17_NSG_IJLi5ELi6EEEENSG_IJLi7EEEEEEENSG_IJLi5ELi7ELi6EEEElEES1F_NS6_IJNSQ_INS6_IJSW_SY_SY_NSZ_INS6_IJiNST_IiLi64EEEEEELb0EEES1I_EEENS6_IJS14_S15_S16_S18_S17_EEENS6_IJS1A_S18_S17_S1B_NSG_IJLi7ELi8EEEEEEENSG_IJLi5ELi6ELi7ELi8EEEElEES1O_EEES1O_NS_31BlockToCTileMap_M00_N0_M01AdaptILi64ELi64ENSQ_INS6_IJSW_SY_SY_EEENS6_IJS14_S15_S16_EEENS6_IJS1A_S18_S17_EEENSG_IJLi3ELi4EEEElEEiEELb1ELi2EEEvPKT0_PKT1_T2_PT3_T4_T5_T6_T7_T8_T9_T10_T11_,"axG",@progbits,_ZN2ck51kernel_gemm_multiple_d_xdl_cshuffle_lds_direct_loadINS_48GridwiseGemmMultipleD_Xdl_CShuffle_LdsDirectLoadINS_13tensor_layout4gemm8RowMajorENS3_11ColumnMajorENS_5TupleIJS4_S4_EEES4_fffffNS6_IJffEEEfNS_16tensor_operation12element_wise11PassThroughESB_NSA_14AddAddFastGeluELNS_25InMemoryDataOperationEnumE0ELNS9_6device18GemmSpecializationE0ELi1ELi64ELi64ELi64ELi64ELi8ELi8ELi16ELi16ELi4ELi2ENS_8SequenceIJLi8ELi1ELi8EEEENSG_IJLi1ELi0ELi2EEEELi2ELi1ELi0ESH_SI_Li2ELi1ELi0ELi2ELi2ENSG_IJLi1ELi8ELi1ELi8EEEELi4ELNS_13LoopSchedulerE0ELNS_15PipelineVersionE2EfEEffNS6_IJPKfSO_EEEfSB_SB_SC_NS_16TensorDescriptorINS6_IJNS_5EmbedINS6_IJiiEEENS6_IJiNS_17integral_constantIiLi1EEEEEELb0EEENS_11PassThroughIiEESY_NS_7UnMergeINS6_IJiNST_IiLi8EEEEEELb0EEESY_EEENS6_IJNSG_IJLi0EEEENSG_IJLi1EEEENSG_IJLi2EEEENSG_IJLi4EEEENSG_IJLi3EEEEEEENS6_IJNSG_IJLi1ELi2EEEES18_S17_NSG_IJLi5ELi6EEEENSG_IJLi7EEEEEEENSG_IJLi5ELi7ELi6EEEElEES1F_NS6_IJNSQ_INS6_IJSW_SY_SY_NSZ_INS6_IJiNST_IiLi64EEEEEELb0EEES1I_EEENS6_IJS14_S15_S16_S18_S17_EEENS6_IJS1A_S18_S17_S1B_NSG_IJLi7ELi8EEEEEEENSG_IJLi5ELi6ELi7ELi8EEEElEES1O_EEES1O_NS_31BlockToCTileMap_M00_N0_M01AdaptILi64ELi64ENSQ_INS6_IJSW_SY_SY_EEENS6_IJS14_S15_S16_EEENS6_IJS1A_S18_S17_EEENSG_IJLi3ELi4EEEElEEiEELb1ELi2EEEvPKT0_PKT1_T2_PT3_T4_T5_T6_T7_T8_T9_T10_T11_,comdat
.Lfunc_end3:
	.size	_ZN2ck51kernel_gemm_multiple_d_xdl_cshuffle_lds_direct_loadINS_48GridwiseGemmMultipleD_Xdl_CShuffle_LdsDirectLoadINS_13tensor_layout4gemm8RowMajorENS3_11ColumnMajorENS_5TupleIJS4_S4_EEES4_fffffNS6_IJffEEEfNS_16tensor_operation12element_wise11PassThroughESB_NSA_14AddAddFastGeluELNS_25InMemoryDataOperationEnumE0ELNS9_6device18GemmSpecializationE0ELi1ELi64ELi64ELi64ELi64ELi8ELi8ELi16ELi16ELi4ELi2ENS_8SequenceIJLi8ELi1ELi8EEEENSG_IJLi1ELi0ELi2EEEELi2ELi1ELi0ESH_SI_Li2ELi1ELi0ELi2ELi2ENSG_IJLi1ELi8ELi1ELi8EEEELi4ELNS_13LoopSchedulerE0ELNS_15PipelineVersionE2EfEEffNS6_IJPKfSO_EEEfSB_SB_SC_NS_16TensorDescriptorINS6_IJNS_5EmbedINS6_IJiiEEENS6_IJiNS_17integral_constantIiLi1EEEEEELb0EEENS_11PassThroughIiEESY_NS_7UnMergeINS6_IJiNST_IiLi8EEEEEELb0EEESY_EEENS6_IJNSG_IJLi0EEEENSG_IJLi1EEEENSG_IJLi2EEEENSG_IJLi4EEEENSG_IJLi3EEEEEEENS6_IJNSG_IJLi1ELi2EEEES18_S17_NSG_IJLi5ELi6EEEENSG_IJLi7EEEEEEENSG_IJLi5ELi7ELi6EEEElEES1F_NS6_IJNSQ_INS6_IJSW_SY_SY_NSZ_INS6_IJiNST_IiLi64EEEEEELb0EEES1I_EEENS6_IJS14_S15_S16_S18_S17_EEENS6_IJS1A_S18_S17_S1B_NSG_IJLi7ELi8EEEEEEENSG_IJLi5ELi6ELi7ELi8EEEElEES1O_EEES1O_NS_31BlockToCTileMap_M00_N0_M01AdaptILi64ELi64ENSQ_INS6_IJSW_SY_SY_EEENS6_IJS14_S15_S16_EEENS6_IJS1A_S18_S17_EEENSG_IJLi3ELi4EEEElEEiEELb1ELi2EEEvPKT0_PKT1_T2_PT3_T4_T5_T6_T7_T8_T9_T10_T11_, .Lfunc_end3-_ZN2ck51kernel_gemm_multiple_d_xdl_cshuffle_lds_direct_loadINS_48GridwiseGemmMultipleD_Xdl_CShuffle_LdsDirectLoadINS_13tensor_layout4gemm8RowMajorENS3_11ColumnMajorENS_5TupleIJS4_S4_EEES4_fffffNS6_IJffEEEfNS_16tensor_operation12element_wise11PassThroughESB_NSA_14AddAddFastGeluELNS_25InMemoryDataOperationEnumE0ELNS9_6device18GemmSpecializationE0ELi1ELi64ELi64ELi64ELi64ELi8ELi8ELi16ELi16ELi4ELi2ENS_8SequenceIJLi8ELi1ELi8EEEENSG_IJLi1ELi0ELi2EEEELi2ELi1ELi0ESH_SI_Li2ELi1ELi0ELi2ELi2ENSG_IJLi1ELi8ELi1ELi8EEEELi4ELNS_13LoopSchedulerE0ELNS_15PipelineVersionE2EfEEffNS6_IJPKfSO_EEEfSB_SB_SC_NS_16TensorDescriptorINS6_IJNS_5EmbedINS6_IJiiEEENS6_IJiNS_17integral_constantIiLi1EEEEEELb0EEENS_11PassThroughIiEESY_NS_7UnMergeINS6_IJiNST_IiLi8EEEEEELb0EEESY_EEENS6_IJNSG_IJLi0EEEENSG_IJLi1EEEENSG_IJLi2EEEENSG_IJLi4EEEENSG_IJLi3EEEEEEENS6_IJNSG_IJLi1ELi2EEEES18_S17_NSG_IJLi5ELi6EEEENSG_IJLi7EEEEEEENSG_IJLi5ELi7ELi6EEEElEES1F_NS6_IJNSQ_INS6_IJSW_SY_SY_NSZ_INS6_IJiNST_IiLi64EEEEEELb0EEES1I_EEENS6_IJS14_S15_S16_S18_S17_EEENS6_IJS1A_S18_S17_S1B_NSG_IJLi7ELi8EEEEEEENSG_IJLi5ELi6ELi7ELi8EEEElEES1O_EEES1O_NS_31BlockToCTileMap_M00_N0_M01AdaptILi64ELi64ENSQ_INS6_IJSW_SY_SY_EEENS6_IJS14_S15_S16_EEENS6_IJS1A_S18_S17_EEENSG_IJLi3ELi4EEEElEEiEELb1ELi2EEEvPKT0_PKT1_T2_PT3_T4_T5_T6_T7_T8_T9_T10_T11_
                                        ; -- End function
	.section	.AMDGPU.csdata,"",@progbits
; Kernel info:
; codeLenInByte = 4
; NumSgprs: 4
; NumVgprs: 0
; NumAgprs: 0
; TotalNumVgprs: 0
; ScratchSize: 0
; MemoryBound: 0
; FloatMode: 240
; IeeeMode: 1
; LDSByteSize: 0 bytes/workgroup (compile time only)
; SGPRBlocks: 0
; VGPRBlocks: 0
; NumSGPRsForWavesPerEU: 4
; NumVGPRsForWavesPerEU: 1
; AccumOffset: 4
; Occupancy: 8
; WaveLimiterHint : 0
; COMPUTE_PGM_RSRC2:SCRATCH_EN: 0
; COMPUTE_PGM_RSRC2:USER_SGPR: 6
; COMPUTE_PGM_RSRC2:TRAP_HANDLER: 0
; COMPUTE_PGM_RSRC2:TGID_X_EN: 1
; COMPUTE_PGM_RSRC2:TGID_Y_EN: 0
; COMPUTE_PGM_RSRC2:TGID_Z_EN: 0
; COMPUTE_PGM_RSRC2:TIDIG_COMP_CNT: 0
; COMPUTE_PGM_RSRC3_GFX90A:ACCUM_OFFSET: 0
; COMPUTE_PGM_RSRC3_GFX90A:TG_SPLIT: 0
	.section	.text._ZN2ck51kernel_gemm_multiple_d_xdl_cshuffle_lds_direct_loadINS_48GridwiseGemmMultipleD_Xdl_CShuffle_LdsDirectLoadINS_13tensor_layout4gemm8RowMajorENS3_11ColumnMajorENS_5TupleIJS4_S4_EEES4_fffffNS6_IJffEEEfNS_16tensor_operation12element_wise11PassThroughESB_NSA_14AddAddFastGeluELNS_25InMemoryDataOperationEnumE0ELNS9_6device18GemmSpecializationE0ELi1ELi64ELi64ELi64ELi64ELi8ELi8ELi16ELi16ELi4ELi2ENS_8SequenceIJLi8ELi1ELi8EEEENSG_IJLi1ELi0ELi2EEEELi2ELi1ELi0ESH_SI_Li2ELi1ELi0ELi2ELi2ENSG_IJLi1ELi8ELi1ELi8EEEELi4ELNS_13LoopSchedulerE0ELNS_15PipelineVersionE2EfEEffNS6_IJPKfSO_EEEfSB_SB_SC_NS_16TensorDescriptorINS6_IJNS_5EmbedINS6_IJiiEEENS6_IJiNS_17integral_constantIiLi1EEEEEELb0EEENS_11PassThroughIiEESY_NS_7UnMergeINS6_IJiNST_IiLi8EEEEEELb0EEESY_EEENS6_IJNSG_IJLi0EEEENSG_IJLi1EEEENSG_IJLi2EEEENSG_IJLi4EEEENSG_IJLi3EEEEEEENS6_IJNSG_IJLi1ELi2EEEES18_S17_NSG_IJLi5ELi6EEEENSG_IJLi7EEEEEEENSG_IJLi5ELi7ELi6EEEElEES1F_NS6_IJNSQ_INS6_IJSW_SY_SY_NSZ_INS6_IJiNST_IiLi64EEEEEELb0EEES1I_EEENS6_IJS14_S15_S16_S18_S17_EEENS6_IJS1A_S18_S17_S1B_NSG_IJLi7ELi8EEEEEEENSG_IJLi5ELi6ELi7ELi8EEEElEES1O_EEES1O_NS_31BlockToCTileMap_M00_N0_M01AdaptILi64ELi64ENSQ_INS6_IJSW_SY_SY_EEENS6_IJS14_S15_S16_EEENS6_IJS1A_S18_S17_EEENSG_IJLi3ELi4EEEElEEiEELb0ELi2EEEvPKT0_PKT1_T2_PT3_T4_T5_T6_T7_T8_T9_T10_T11_,"axG",@progbits,_ZN2ck51kernel_gemm_multiple_d_xdl_cshuffle_lds_direct_loadINS_48GridwiseGemmMultipleD_Xdl_CShuffle_LdsDirectLoadINS_13tensor_layout4gemm8RowMajorENS3_11ColumnMajorENS_5TupleIJS4_S4_EEES4_fffffNS6_IJffEEEfNS_16tensor_operation12element_wise11PassThroughESB_NSA_14AddAddFastGeluELNS_25InMemoryDataOperationEnumE0ELNS9_6device18GemmSpecializationE0ELi1ELi64ELi64ELi64ELi64ELi8ELi8ELi16ELi16ELi4ELi2ENS_8SequenceIJLi8ELi1ELi8EEEENSG_IJLi1ELi0ELi2EEEELi2ELi1ELi0ESH_SI_Li2ELi1ELi0ELi2ELi2ENSG_IJLi1ELi8ELi1ELi8EEEELi4ELNS_13LoopSchedulerE0ELNS_15PipelineVersionE2EfEEffNS6_IJPKfSO_EEEfSB_SB_SC_NS_16TensorDescriptorINS6_IJNS_5EmbedINS6_IJiiEEENS6_IJiNS_17integral_constantIiLi1EEEEEELb0EEENS_11PassThroughIiEESY_NS_7UnMergeINS6_IJiNST_IiLi8EEEEEELb0EEESY_EEENS6_IJNSG_IJLi0EEEENSG_IJLi1EEEENSG_IJLi2EEEENSG_IJLi4EEEENSG_IJLi3EEEEEEENS6_IJNSG_IJLi1ELi2EEEES18_S17_NSG_IJLi5ELi6EEEENSG_IJLi7EEEEEEENSG_IJLi5ELi7ELi6EEEElEES1F_NS6_IJNSQ_INS6_IJSW_SY_SY_NSZ_INS6_IJiNST_IiLi64EEEEEELb0EEES1I_EEENS6_IJS14_S15_S16_S18_S17_EEENS6_IJS1A_S18_S17_S1B_NSG_IJLi7ELi8EEEEEEENSG_IJLi5ELi6ELi7ELi8EEEElEES1O_EEES1O_NS_31BlockToCTileMap_M00_N0_M01AdaptILi64ELi64ENSQ_INS6_IJSW_SY_SY_EEENS6_IJS14_S15_S16_EEENS6_IJS1A_S18_S17_EEENSG_IJLi3ELi4EEEElEEiEELb0ELi2EEEvPKT0_PKT1_T2_PT3_T4_T5_T6_T7_T8_T9_T10_T11_,comdat
	.protected	_ZN2ck51kernel_gemm_multiple_d_xdl_cshuffle_lds_direct_loadINS_48GridwiseGemmMultipleD_Xdl_CShuffle_LdsDirectLoadINS_13tensor_layout4gemm8RowMajorENS3_11ColumnMajorENS_5TupleIJS4_S4_EEES4_fffffNS6_IJffEEEfNS_16tensor_operation12element_wise11PassThroughESB_NSA_14AddAddFastGeluELNS_25InMemoryDataOperationEnumE0ELNS9_6device18GemmSpecializationE0ELi1ELi64ELi64ELi64ELi64ELi8ELi8ELi16ELi16ELi4ELi2ENS_8SequenceIJLi8ELi1ELi8EEEENSG_IJLi1ELi0ELi2EEEELi2ELi1ELi0ESH_SI_Li2ELi1ELi0ELi2ELi2ENSG_IJLi1ELi8ELi1ELi8EEEELi4ELNS_13LoopSchedulerE0ELNS_15PipelineVersionE2EfEEffNS6_IJPKfSO_EEEfSB_SB_SC_NS_16TensorDescriptorINS6_IJNS_5EmbedINS6_IJiiEEENS6_IJiNS_17integral_constantIiLi1EEEEEELb0EEENS_11PassThroughIiEESY_NS_7UnMergeINS6_IJiNST_IiLi8EEEEEELb0EEESY_EEENS6_IJNSG_IJLi0EEEENSG_IJLi1EEEENSG_IJLi2EEEENSG_IJLi4EEEENSG_IJLi3EEEEEEENS6_IJNSG_IJLi1ELi2EEEES18_S17_NSG_IJLi5ELi6EEEENSG_IJLi7EEEEEEENSG_IJLi5ELi7ELi6EEEElEES1F_NS6_IJNSQ_INS6_IJSW_SY_SY_NSZ_INS6_IJiNST_IiLi64EEEEEELb0EEES1I_EEENS6_IJS14_S15_S16_S18_S17_EEENS6_IJS1A_S18_S17_S1B_NSG_IJLi7ELi8EEEEEEENSG_IJLi5ELi6ELi7ELi8EEEElEES1O_EEES1O_NS_31BlockToCTileMap_M00_N0_M01AdaptILi64ELi64ENSQ_INS6_IJSW_SY_SY_EEENS6_IJS14_S15_S16_EEENS6_IJS1A_S18_S17_EEENSG_IJLi3ELi4EEEElEEiEELb0ELi2EEEvPKT0_PKT1_T2_PT3_T4_T5_T6_T7_T8_T9_T10_T11_ ; -- Begin function _ZN2ck51kernel_gemm_multiple_d_xdl_cshuffle_lds_direct_loadINS_48GridwiseGemmMultipleD_Xdl_CShuffle_LdsDirectLoadINS_13tensor_layout4gemm8RowMajorENS3_11ColumnMajorENS_5TupleIJS4_S4_EEES4_fffffNS6_IJffEEEfNS_16tensor_operation12element_wise11PassThroughESB_NSA_14AddAddFastGeluELNS_25InMemoryDataOperationEnumE0ELNS9_6device18GemmSpecializationE0ELi1ELi64ELi64ELi64ELi64ELi8ELi8ELi16ELi16ELi4ELi2ENS_8SequenceIJLi8ELi1ELi8EEEENSG_IJLi1ELi0ELi2EEEELi2ELi1ELi0ESH_SI_Li2ELi1ELi0ELi2ELi2ENSG_IJLi1ELi8ELi1ELi8EEEELi4ELNS_13LoopSchedulerE0ELNS_15PipelineVersionE2EfEEffNS6_IJPKfSO_EEEfSB_SB_SC_NS_16TensorDescriptorINS6_IJNS_5EmbedINS6_IJiiEEENS6_IJiNS_17integral_constantIiLi1EEEEEELb0EEENS_11PassThroughIiEESY_NS_7UnMergeINS6_IJiNST_IiLi8EEEEEELb0EEESY_EEENS6_IJNSG_IJLi0EEEENSG_IJLi1EEEENSG_IJLi2EEEENSG_IJLi4EEEENSG_IJLi3EEEEEEENS6_IJNSG_IJLi1ELi2EEEES18_S17_NSG_IJLi5ELi6EEEENSG_IJLi7EEEEEEENSG_IJLi5ELi7ELi6EEEElEES1F_NS6_IJNSQ_INS6_IJSW_SY_SY_NSZ_INS6_IJiNST_IiLi64EEEEEELb0EEES1I_EEENS6_IJS14_S15_S16_S18_S17_EEENS6_IJS1A_S18_S17_S1B_NSG_IJLi7ELi8EEEEEEENSG_IJLi5ELi6ELi7ELi8EEEElEES1O_EEES1O_NS_31BlockToCTileMap_M00_N0_M01AdaptILi64ELi64ENSQ_INS6_IJSW_SY_SY_EEENS6_IJS14_S15_S16_EEENS6_IJS1A_S18_S17_EEENSG_IJLi3ELi4EEEElEEiEELb0ELi2EEEvPKT0_PKT1_T2_PT3_T4_T5_T6_T7_T8_T9_T10_T11_
	.globl	_ZN2ck51kernel_gemm_multiple_d_xdl_cshuffle_lds_direct_loadINS_48GridwiseGemmMultipleD_Xdl_CShuffle_LdsDirectLoadINS_13tensor_layout4gemm8RowMajorENS3_11ColumnMajorENS_5TupleIJS4_S4_EEES4_fffffNS6_IJffEEEfNS_16tensor_operation12element_wise11PassThroughESB_NSA_14AddAddFastGeluELNS_25InMemoryDataOperationEnumE0ELNS9_6device18GemmSpecializationE0ELi1ELi64ELi64ELi64ELi64ELi8ELi8ELi16ELi16ELi4ELi2ENS_8SequenceIJLi8ELi1ELi8EEEENSG_IJLi1ELi0ELi2EEEELi2ELi1ELi0ESH_SI_Li2ELi1ELi0ELi2ELi2ENSG_IJLi1ELi8ELi1ELi8EEEELi4ELNS_13LoopSchedulerE0ELNS_15PipelineVersionE2EfEEffNS6_IJPKfSO_EEEfSB_SB_SC_NS_16TensorDescriptorINS6_IJNS_5EmbedINS6_IJiiEEENS6_IJiNS_17integral_constantIiLi1EEEEEELb0EEENS_11PassThroughIiEESY_NS_7UnMergeINS6_IJiNST_IiLi8EEEEEELb0EEESY_EEENS6_IJNSG_IJLi0EEEENSG_IJLi1EEEENSG_IJLi2EEEENSG_IJLi4EEEENSG_IJLi3EEEEEEENS6_IJNSG_IJLi1ELi2EEEES18_S17_NSG_IJLi5ELi6EEEENSG_IJLi7EEEEEEENSG_IJLi5ELi7ELi6EEEElEES1F_NS6_IJNSQ_INS6_IJSW_SY_SY_NSZ_INS6_IJiNST_IiLi64EEEEEELb0EEES1I_EEENS6_IJS14_S15_S16_S18_S17_EEENS6_IJS1A_S18_S17_S1B_NSG_IJLi7ELi8EEEEEEENSG_IJLi5ELi6ELi7ELi8EEEElEES1O_EEES1O_NS_31BlockToCTileMap_M00_N0_M01AdaptILi64ELi64ENSQ_INS6_IJSW_SY_SY_EEENS6_IJS14_S15_S16_EEENS6_IJS1A_S18_S17_EEENSG_IJLi3ELi4EEEElEEiEELb0ELi2EEEvPKT0_PKT1_T2_PT3_T4_T5_T6_T7_T8_T9_T10_T11_
	.p2align	8
	.type	_ZN2ck51kernel_gemm_multiple_d_xdl_cshuffle_lds_direct_loadINS_48GridwiseGemmMultipleD_Xdl_CShuffle_LdsDirectLoadINS_13tensor_layout4gemm8RowMajorENS3_11ColumnMajorENS_5TupleIJS4_S4_EEES4_fffffNS6_IJffEEEfNS_16tensor_operation12element_wise11PassThroughESB_NSA_14AddAddFastGeluELNS_25InMemoryDataOperationEnumE0ELNS9_6device18GemmSpecializationE0ELi1ELi64ELi64ELi64ELi64ELi8ELi8ELi16ELi16ELi4ELi2ENS_8SequenceIJLi8ELi1ELi8EEEENSG_IJLi1ELi0ELi2EEEELi2ELi1ELi0ESH_SI_Li2ELi1ELi0ELi2ELi2ENSG_IJLi1ELi8ELi1ELi8EEEELi4ELNS_13LoopSchedulerE0ELNS_15PipelineVersionE2EfEEffNS6_IJPKfSO_EEEfSB_SB_SC_NS_16TensorDescriptorINS6_IJNS_5EmbedINS6_IJiiEEENS6_IJiNS_17integral_constantIiLi1EEEEEELb0EEENS_11PassThroughIiEESY_NS_7UnMergeINS6_IJiNST_IiLi8EEEEEELb0EEESY_EEENS6_IJNSG_IJLi0EEEENSG_IJLi1EEEENSG_IJLi2EEEENSG_IJLi4EEEENSG_IJLi3EEEEEEENS6_IJNSG_IJLi1ELi2EEEES18_S17_NSG_IJLi5ELi6EEEENSG_IJLi7EEEEEEENSG_IJLi5ELi7ELi6EEEElEES1F_NS6_IJNSQ_INS6_IJSW_SY_SY_NSZ_INS6_IJiNST_IiLi64EEEEEELb0EEES1I_EEENS6_IJS14_S15_S16_S18_S17_EEENS6_IJS1A_S18_S17_S1B_NSG_IJLi7ELi8EEEEEEENSG_IJLi5ELi6ELi7ELi8EEEElEES1O_EEES1O_NS_31BlockToCTileMap_M00_N0_M01AdaptILi64ELi64ENSQ_INS6_IJSW_SY_SY_EEENS6_IJS14_S15_S16_EEENS6_IJS1A_S18_S17_EEENSG_IJLi3ELi4EEEElEEiEELb0ELi2EEEvPKT0_PKT1_T2_PT3_T4_T5_T6_T7_T8_T9_T10_T11_,@function
_ZN2ck51kernel_gemm_multiple_d_xdl_cshuffle_lds_direct_loadINS_48GridwiseGemmMultipleD_Xdl_CShuffle_LdsDirectLoadINS_13tensor_layout4gemm8RowMajorENS3_11ColumnMajorENS_5TupleIJS4_S4_EEES4_fffffNS6_IJffEEEfNS_16tensor_operation12element_wise11PassThroughESB_NSA_14AddAddFastGeluELNS_25InMemoryDataOperationEnumE0ELNS9_6device18GemmSpecializationE0ELi1ELi64ELi64ELi64ELi64ELi8ELi8ELi16ELi16ELi4ELi2ENS_8SequenceIJLi8ELi1ELi8EEEENSG_IJLi1ELi0ELi2EEEELi2ELi1ELi0ESH_SI_Li2ELi1ELi0ELi2ELi2ENSG_IJLi1ELi8ELi1ELi8EEEELi4ELNS_13LoopSchedulerE0ELNS_15PipelineVersionE2EfEEffNS6_IJPKfSO_EEEfSB_SB_SC_NS_16TensorDescriptorINS6_IJNS_5EmbedINS6_IJiiEEENS6_IJiNS_17integral_constantIiLi1EEEEEELb0EEENS_11PassThroughIiEESY_NS_7UnMergeINS6_IJiNST_IiLi8EEEEEELb0EEESY_EEENS6_IJNSG_IJLi0EEEENSG_IJLi1EEEENSG_IJLi2EEEENSG_IJLi4EEEENSG_IJLi3EEEEEEENS6_IJNSG_IJLi1ELi2EEEES18_S17_NSG_IJLi5ELi6EEEENSG_IJLi7EEEEEEENSG_IJLi5ELi7ELi6EEEElEES1F_NS6_IJNSQ_INS6_IJSW_SY_SY_NSZ_INS6_IJiNST_IiLi64EEEEEELb0EEES1I_EEENS6_IJS14_S15_S16_S18_S17_EEENS6_IJS1A_S18_S17_S1B_NSG_IJLi7ELi8EEEEEEENSG_IJLi5ELi6ELi7ELi8EEEElEES1O_EEES1O_NS_31BlockToCTileMap_M00_N0_M01AdaptILi64ELi64ENSQ_INS6_IJSW_SY_SY_EEENS6_IJS14_S15_S16_EEENS6_IJS1A_S18_S17_EEENSG_IJLi3ELi4EEEElEEiEELb0ELi2EEEvPKT0_PKT1_T2_PT3_T4_T5_T6_T7_T8_T9_T10_T11_: ; @_ZN2ck51kernel_gemm_multiple_d_xdl_cshuffle_lds_direct_loadINS_48GridwiseGemmMultipleD_Xdl_CShuffle_LdsDirectLoadINS_13tensor_layout4gemm8RowMajorENS3_11ColumnMajorENS_5TupleIJS4_S4_EEES4_fffffNS6_IJffEEEfNS_16tensor_operation12element_wise11PassThroughESB_NSA_14AddAddFastGeluELNS_25InMemoryDataOperationEnumE0ELNS9_6device18GemmSpecializationE0ELi1ELi64ELi64ELi64ELi64ELi8ELi8ELi16ELi16ELi4ELi2ENS_8SequenceIJLi8ELi1ELi8EEEENSG_IJLi1ELi0ELi2EEEELi2ELi1ELi0ESH_SI_Li2ELi1ELi0ELi2ELi2ENSG_IJLi1ELi8ELi1ELi8EEEELi4ELNS_13LoopSchedulerE0ELNS_15PipelineVersionE2EfEEffNS6_IJPKfSO_EEEfSB_SB_SC_NS_16TensorDescriptorINS6_IJNS_5EmbedINS6_IJiiEEENS6_IJiNS_17integral_constantIiLi1EEEEEELb0EEENS_11PassThroughIiEESY_NS_7UnMergeINS6_IJiNST_IiLi8EEEEEELb0EEESY_EEENS6_IJNSG_IJLi0EEEENSG_IJLi1EEEENSG_IJLi2EEEENSG_IJLi4EEEENSG_IJLi3EEEEEEENS6_IJNSG_IJLi1ELi2EEEES18_S17_NSG_IJLi5ELi6EEEENSG_IJLi7EEEEEEENSG_IJLi5ELi7ELi6EEEElEES1F_NS6_IJNSQ_INS6_IJSW_SY_SY_NSZ_INS6_IJiNST_IiLi64EEEEEELb0EEES1I_EEENS6_IJS14_S15_S16_S18_S17_EEENS6_IJS1A_S18_S17_S1B_NSG_IJLi7ELi8EEEEEEENSG_IJLi5ELi6ELi7ELi8EEEElEES1O_EEES1O_NS_31BlockToCTileMap_M00_N0_M01AdaptILi64ELi64ENSQ_INS6_IJSW_SY_SY_EEENS6_IJS14_S15_S16_EEENS6_IJS1A_S18_S17_EEENSG_IJLi3ELi4EEEElEEiEELb0ELi2EEEvPKT0_PKT1_T2_PT3_T4_T5_T6_T7_T8_T9_T10_T11_
; %bb.0:
	s_endpgm
	.section	.rodata,"a",@progbits
	.p2align	6, 0x0
	.amdhsa_kernel _ZN2ck51kernel_gemm_multiple_d_xdl_cshuffle_lds_direct_loadINS_48GridwiseGemmMultipleD_Xdl_CShuffle_LdsDirectLoadINS_13tensor_layout4gemm8RowMajorENS3_11ColumnMajorENS_5TupleIJS4_S4_EEES4_fffffNS6_IJffEEEfNS_16tensor_operation12element_wise11PassThroughESB_NSA_14AddAddFastGeluELNS_25InMemoryDataOperationEnumE0ELNS9_6device18GemmSpecializationE0ELi1ELi64ELi64ELi64ELi64ELi8ELi8ELi16ELi16ELi4ELi2ENS_8SequenceIJLi8ELi1ELi8EEEENSG_IJLi1ELi0ELi2EEEELi2ELi1ELi0ESH_SI_Li2ELi1ELi0ELi2ELi2ENSG_IJLi1ELi8ELi1ELi8EEEELi4ELNS_13LoopSchedulerE0ELNS_15PipelineVersionE2EfEEffNS6_IJPKfSO_EEEfSB_SB_SC_NS_16TensorDescriptorINS6_IJNS_5EmbedINS6_IJiiEEENS6_IJiNS_17integral_constantIiLi1EEEEEELb0EEENS_11PassThroughIiEESY_NS_7UnMergeINS6_IJiNST_IiLi8EEEEEELb0EEESY_EEENS6_IJNSG_IJLi0EEEENSG_IJLi1EEEENSG_IJLi2EEEENSG_IJLi4EEEENSG_IJLi3EEEEEEENS6_IJNSG_IJLi1ELi2EEEES18_S17_NSG_IJLi5ELi6EEEENSG_IJLi7EEEEEEENSG_IJLi5ELi7ELi6EEEElEES1F_NS6_IJNSQ_INS6_IJSW_SY_SY_NSZ_INS6_IJiNST_IiLi64EEEEEELb0EEES1I_EEENS6_IJS14_S15_S16_S18_S17_EEENS6_IJS1A_S18_S17_S1B_NSG_IJLi7ELi8EEEEEEENSG_IJLi5ELi6ELi7ELi8EEEElEES1O_EEES1O_NS_31BlockToCTileMap_M00_N0_M01AdaptILi64ELi64ENSQ_INS6_IJSW_SY_SY_EEENS6_IJS14_S15_S16_EEENS6_IJS1A_S18_S17_EEENSG_IJLi3ELi4EEEElEEiEELb0ELi2EEEvPKT0_PKT1_T2_PT3_T4_T5_T6_T7_T8_T9_T10_T11_
		.amdhsa_group_segment_fixed_size 0
		.amdhsa_private_segment_fixed_size 0
		.amdhsa_kernarg_size 364
		.amdhsa_user_sgpr_count 6
		.amdhsa_user_sgpr_private_segment_buffer 1
		.amdhsa_user_sgpr_dispatch_ptr 0
		.amdhsa_user_sgpr_queue_ptr 0
		.amdhsa_user_sgpr_kernarg_segment_ptr 1
		.amdhsa_user_sgpr_dispatch_id 0
		.amdhsa_user_sgpr_flat_scratch_init 0
		.amdhsa_user_sgpr_kernarg_preload_length 0
		.amdhsa_user_sgpr_kernarg_preload_offset 0
		.amdhsa_user_sgpr_private_segment_size 0
		.amdhsa_uses_dynamic_stack 0
		.amdhsa_system_sgpr_private_segment_wavefront_offset 0
		.amdhsa_system_sgpr_workgroup_id_x 1
		.amdhsa_system_sgpr_workgroup_id_y 0
		.amdhsa_system_sgpr_workgroup_id_z 0
		.amdhsa_system_sgpr_workgroup_info 0
		.amdhsa_system_vgpr_workitem_id 0
		.amdhsa_next_free_vgpr 1
		.amdhsa_next_free_sgpr 0
		.amdhsa_accum_offset 4
		.amdhsa_reserve_vcc 0
		.amdhsa_reserve_flat_scratch 0
		.amdhsa_float_round_mode_32 0
		.amdhsa_float_round_mode_16_64 0
		.amdhsa_float_denorm_mode_32 3
		.amdhsa_float_denorm_mode_16_64 3
		.amdhsa_dx10_clamp 1
		.amdhsa_ieee_mode 1
		.amdhsa_fp16_overflow 0
		.amdhsa_tg_split 0
		.amdhsa_exception_fp_ieee_invalid_op 0
		.amdhsa_exception_fp_denorm_src 0
		.amdhsa_exception_fp_ieee_div_zero 0
		.amdhsa_exception_fp_ieee_overflow 0
		.amdhsa_exception_fp_ieee_underflow 0
		.amdhsa_exception_fp_ieee_inexact 0
		.amdhsa_exception_int_div_zero 0
	.end_amdhsa_kernel
	.section	.text._ZN2ck51kernel_gemm_multiple_d_xdl_cshuffle_lds_direct_loadINS_48GridwiseGemmMultipleD_Xdl_CShuffle_LdsDirectLoadINS_13tensor_layout4gemm8RowMajorENS3_11ColumnMajorENS_5TupleIJS4_S4_EEES4_fffffNS6_IJffEEEfNS_16tensor_operation12element_wise11PassThroughESB_NSA_14AddAddFastGeluELNS_25InMemoryDataOperationEnumE0ELNS9_6device18GemmSpecializationE0ELi1ELi64ELi64ELi64ELi64ELi8ELi8ELi16ELi16ELi4ELi2ENS_8SequenceIJLi8ELi1ELi8EEEENSG_IJLi1ELi0ELi2EEEELi2ELi1ELi0ESH_SI_Li2ELi1ELi0ELi2ELi2ENSG_IJLi1ELi8ELi1ELi8EEEELi4ELNS_13LoopSchedulerE0ELNS_15PipelineVersionE2EfEEffNS6_IJPKfSO_EEEfSB_SB_SC_NS_16TensorDescriptorINS6_IJNS_5EmbedINS6_IJiiEEENS6_IJiNS_17integral_constantIiLi1EEEEEELb0EEENS_11PassThroughIiEESY_NS_7UnMergeINS6_IJiNST_IiLi8EEEEEELb0EEESY_EEENS6_IJNSG_IJLi0EEEENSG_IJLi1EEEENSG_IJLi2EEEENSG_IJLi4EEEENSG_IJLi3EEEEEEENS6_IJNSG_IJLi1ELi2EEEES18_S17_NSG_IJLi5ELi6EEEENSG_IJLi7EEEEEEENSG_IJLi5ELi7ELi6EEEElEES1F_NS6_IJNSQ_INS6_IJSW_SY_SY_NSZ_INS6_IJiNST_IiLi64EEEEEELb0EEES1I_EEENS6_IJS14_S15_S16_S18_S17_EEENS6_IJS1A_S18_S17_S1B_NSG_IJLi7ELi8EEEEEEENSG_IJLi5ELi6ELi7ELi8EEEElEES1O_EEES1O_NS_31BlockToCTileMap_M00_N0_M01AdaptILi64ELi64ENSQ_INS6_IJSW_SY_SY_EEENS6_IJS14_S15_S16_EEENS6_IJS1A_S18_S17_EEENSG_IJLi3ELi4EEEElEEiEELb0ELi2EEEvPKT0_PKT1_T2_PT3_T4_T5_T6_T7_T8_T9_T10_T11_,"axG",@progbits,_ZN2ck51kernel_gemm_multiple_d_xdl_cshuffle_lds_direct_loadINS_48GridwiseGemmMultipleD_Xdl_CShuffle_LdsDirectLoadINS_13tensor_layout4gemm8RowMajorENS3_11ColumnMajorENS_5TupleIJS4_S4_EEES4_fffffNS6_IJffEEEfNS_16tensor_operation12element_wise11PassThroughESB_NSA_14AddAddFastGeluELNS_25InMemoryDataOperationEnumE0ELNS9_6device18GemmSpecializationE0ELi1ELi64ELi64ELi64ELi64ELi8ELi8ELi16ELi16ELi4ELi2ENS_8SequenceIJLi8ELi1ELi8EEEENSG_IJLi1ELi0ELi2EEEELi2ELi1ELi0ESH_SI_Li2ELi1ELi0ELi2ELi2ENSG_IJLi1ELi8ELi1ELi8EEEELi4ELNS_13LoopSchedulerE0ELNS_15PipelineVersionE2EfEEffNS6_IJPKfSO_EEEfSB_SB_SC_NS_16TensorDescriptorINS6_IJNS_5EmbedINS6_IJiiEEENS6_IJiNS_17integral_constantIiLi1EEEEEELb0EEENS_11PassThroughIiEESY_NS_7UnMergeINS6_IJiNST_IiLi8EEEEEELb0EEESY_EEENS6_IJNSG_IJLi0EEEENSG_IJLi1EEEENSG_IJLi2EEEENSG_IJLi4EEEENSG_IJLi3EEEEEEENS6_IJNSG_IJLi1ELi2EEEES18_S17_NSG_IJLi5ELi6EEEENSG_IJLi7EEEEEEENSG_IJLi5ELi7ELi6EEEElEES1F_NS6_IJNSQ_INS6_IJSW_SY_SY_NSZ_INS6_IJiNST_IiLi64EEEEEELb0EEES1I_EEENS6_IJS14_S15_S16_S18_S17_EEENS6_IJS1A_S18_S17_S1B_NSG_IJLi7ELi8EEEEEEENSG_IJLi5ELi6ELi7ELi8EEEElEES1O_EEES1O_NS_31BlockToCTileMap_M00_N0_M01AdaptILi64ELi64ENSQ_INS6_IJSW_SY_SY_EEENS6_IJS14_S15_S16_EEENS6_IJS1A_S18_S17_EEENSG_IJLi3ELi4EEEElEEiEELb0ELi2EEEvPKT0_PKT1_T2_PT3_T4_T5_T6_T7_T8_T9_T10_T11_,comdat
.Lfunc_end4:
	.size	_ZN2ck51kernel_gemm_multiple_d_xdl_cshuffle_lds_direct_loadINS_48GridwiseGemmMultipleD_Xdl_CShuffle_LdsDirectLoadINS_13tensor_layout4gemm8RowMajorENS3_11ColumnMajorENS_5TupleIJS4_S4_EEES4_fffffNS6_IJffEEEfNS_16tensor_operation12element_wise11PassThroughESB_NSA_14AddAddFastGeluELNS_25InMemoryDataOperationEnumE0ELNS9_6device18GemmSpecializationE0ELi1ELi64ELi64ELi64ELi64ELi8ELi8ELi16ELi16ELi4ELi2ENS_8SequenceIJLi8ELi1ELi8EEEENSG_IJLi1ELi0ELi2EEEELi2ELi1ELi0ESH_SI_Li2ELi1ELi0ELi2ELi2ENSG_IJLi1ELi8ELi1ELi8EEEELi4ELNS_13LoopSchedulerE0ELNS_15PipelineVersionE2EfEEffNS6_IJPKfSO_EEEfSB_SB_SC_NS_16TensorDescriptorINS6_IJNS_5EmbedINS6_IJiiEEENS6_IJiNS_17integral_constantIiLi1EEEEEELb0EEENS_11PassThroughIiEESY_NS_7UnMergeINS6_IJiNST_IiLi8EEEEEELb0EEESY_EEENS6_IJNSG_IJLi0EEEENSG_IJLi1EEEENSG_IJLi2EEEENSG_IJLi4EEEENSG_IJLi3EEEEEEENS6_IJNSG_IJLi1ELi2EEEES18_S17_NSG_IJLi5ELi6EEEENSG_IJLi7EEEEEEENSG_IJLi5ELi7ELi6EEEElEES1F_NS6_IJNSQ_INS6_IJSW_SY_SY_NSZ_INS6_IJiNST_IiLi64EEEEEELb0EEES1I_EEENS6_IJS14_S15_S16_S18_S17_EEENS6_IJS1A_S18_S17_S1B_NSG_IJLi7ELi8EEEEEEENSG_IJLi5ELi6ELi7ELi8EEEElEES1O_EEES1O_NS_31BlockToCTileMap_M00_N0_M01AdaptILi64ELi64ENSQ_INS6_IJSW_SY_SY_EEENS6_IJS14_S15_S16_EEENS6_IJS1A_S18_S17_EEENSG_IJLi3ELi4EEEElEEiEELb0ELi2EEEvPKT0_PKT1_T2_PT3_T4_T5_T6_T7_T8_T9_T10_T11_, .Lfunc_end4-_ZN2ck51kernel_gemm_multiple_d_xdl_cshuffle_lds_direct_loadINS_48GridwiseGemmMultipleD_Xdl_CShuffle_LdsDirectLoadINS_13tensor_layout4gemm8RowMajorENS3_11ColumnMajorENS_5TupleIJS4_S4_EEES4_fffffNS6_IJffEEEfNS_16tensor_operation12element_wise11PassThroughESB_NSA_14AddAddFastGeluELNS_25InMemoryDataOperationEnumE0ELNS9_6device18GemmSpecializationE0ELi1ELi64ELi64ELi64ELi64ELi8ELi8ELi16ELi16ELi4ELi2ENS_8SequenceIJLi8ELi1ELi8EEEENSG_IJLi1ELi0ELi2EEEELi2ELi1ELi0ESH_SI_Li2ELi1ELi0ELi2ELi2ENSG_IJLi1ELi8ELi1ELi8EEEELi4ELNS_13LoopSchedulerE0ELNS_15PipelineVersionE2EfEEffNS6_IJPKfSO_EEEfSB_SB_SC_NS_16TensorDescriptorINS6_IJNS_5EmbedINS6_IJiiEEENS6_IJiNS_17integral_constantIiLi1EEEEEELb0EEENS_11PassThroughIiEESY_NS_7UnMergeINS6_IJiNST_IiLi8EEEEEELb0EEESY_EEENS6_IJNSG_IJLi0EEEENSG_IJLi1EEEENSG_IJLi2EEEENSG_IJLi4EEEENSG_IJLi3EEEEEEENS6_IJNSG_IJLi1ELi2EEEES18_S17_NSG_IJLi5ELi6EEEENSG_IJLi7EEEEEEENSG_IJLi5ELi7ELi6EEEElEES1F_NS6_IJNSQ_INS6_IJSW_SY_SY_NSZ_INS6_IJiNST_IiLi64EEEEEELb0EEES1I_EEENS6_IJS14_S15_S16_S18_S17_EEENS6_IJS1A_S18_S17_S1B_NSG_IJLi7ELi8EEEEEEENSG_IJLi5ELi6ELi7ELi8EEEElEES1O_EEES1O_NS_31BlockToCTileMap_M00_N0_M01AdaptILi64ELi64ENSQ_INS6_IJSW_SY_SY_EEENS6_IJS14_S15_S16_EEENS6_IJS1A_S18_S17_EEENSG_IJLi3ELi4EEEElEEiEELb0ELi2EEEvPKT0_PKT1_T2_PT3_T4_T5_T6_T7_T8_T9_T10_T11_
                                        ; -- End function
	.section	.AMDGPU.csdata,"",@progbits
; Kernel info:
; codeLenInByte = 4
; NumSgprs: 4
; NumVgprs: 0
; NumAgprs: 0
; TotalNumVgprs: 0
; ScratchSize: 0
; MemoryBound: 0
; FloatMode: 240
; IeeeMode: 1
; LDSByteSize: 0 bytes/workgroup (compile time only)
; SGPRBlocks: 0
; VGPRBlocks: 0
; NumSGPRsForWavesPerEU: 4
; NumVGPRsForWavesPerEU: 1
; AccumOffset: 4
; Occupancy: 8
; WaveLimiterHint : 0
; COMPUTE_PGM_RSRC2:SCRATCH_EN: 0
; COMPUTE_PGM_RSRC2:USER_SGPR: 6
; COMPUTE_PGM_RSRC2:TRAP_HANDLER: 0
; COMPUTE_PGM_RSRC2:TGID_X_EN: 1
; COMPUTE_PGM_RSRC2:TGID_Y_EN: 0
; COMPUTE_PGM_RSRC2:TGID_Z_EN: 0
; COMPUTE_PGM_RSRC2:TIDIG_COMP_CNT: 0
; COMPUTE_PGM_RSRC3_GFX90A:ACCUM_OFFSET: 0
; COMPUTE_PGM_RSRC3_GFX90A:TG_SPLIT: 0
	.text
	.p2alignl 6, 3212836864
	.fill 256, 4, 3212836864
	.type	__hip_cuid_810b44cf85357b13,@object ; @__hip_cuid_810b44cf85357b13
	.section	.bss,"aw",@nobits
	.globl	__hip_cuid_810b44cf85357b13
__hip_cuid_810b44cf85357b13:
	.byte	0                               ; 0x0
	.size	__hip_cuid_810b44cf85357b13, 1

	.ident	"AMD clang version 19.0.0git (https://github.com/RadeonOpenCompute/llvm-project roc-6.4.0 25133 c7fe45cf4b819c5991fe208aaa96edf142730f1d)"
	.section	".note.GNU-stack","",@progbits
	.addrsig
	.addrsig_sym __hip_cuid_810b44cf85357b13
	.amdgpu_metadata
---
amdhsa.kernels:
  - .agpr_count:     0
    .args:           []
    .group_segment_fixed_size: 0
    .kernarg_segment_align: 4
    .kernarg_segment_size: 0
    .language:       OpenCL C
    .language_version:
      - 2
      - 0
    .max_flat_workgroup_size: 1024
    .name:           _ZN2ckL12flush_icacheEv
    .private_segment_fixed_size: 0
    .sgpr_count:     4
    .sgpr_spill_count: 0
    .symbol:         _ZN2ckL12flush_icacheEv.kd
    .uniform_work_group_size: 1
    .uses_dynamic_stack: false
    .vgpr_count:     0
    .vgpr_spill_count: 0
    .wavefront_size: 64
  - .agpr_count:     0
    .args:
      - .address_space:  global
        .offset:         0
        .size:           8
        .value_kind:     global_buffer
      - .address_space:  global
        .offset:         8
        .size:           8
        .value_kind:     global_buffer
      - .offset:         16
        .size:           16
        .value_kind:     by_value
      - .address_space:  global
        .offset:         32
        .size:           8
        .value_kind:     global_buffer
      - .offset:         40
        .size:           1
        .value_kind:     by_value
      - .offset:         41
        .size:           1
        .value_kind:     by_value
      - .offset:         42
        .size:           1
        .value_kind:     by_value
      - .offset:         48
        .size:           56
        .value_kind:     by_value
      - .offset:         104
        .size:           56
        .value_kind:     by_value
      - .offset:         160
        .size:           128
        .value_kind:     by_value
      - .offset:         288
        .size:           64
        .value_kind:     by_value
      - .offset:         352
        .size:           12
        .value_kind:     by_value
    .group_segment_fixed_size: 32768
    .kernarg_segment_align: 8
    .kernarg_segment_size: 364
    .language:       OpenCL C
    .language_version:
      - 2
      - 0
    .max_flat_workgroup_size: 64
    .name:           _ZN2ck51kernel_gemm_multiple_d_xdl_cshuffle_lds_direct_loadINS_48GridwiseGemmMultipleD_Xdl_CShuffle_LdsDirectLoadINS_13tensor_layout4gemm8RowMajorENS3_11ColumnMajorENS_5TupleIJS4_S4_EEES4_fffffNS6_IJffEEEfNS_16tensor_operation12element_wise11PassThroughESB_NSA_14AddAddFastGeluELNS_25InMemoryDataOperationEnumE0ELNS9_6device18GemmSpecializationE0ELi1ELi64ELi64ELi64ELi64ELi8ELi8ELi32ELi32ELi2ELi2ENS_8SequenceIJLi8ELi1ELi8EEEENSG_IJLi1ELi0ELi2EEEELi2ELi1ELi0ESH_SI_Li2ELi1ELi0ELi1ELi1ENSG_IJLi1ELi8ELi1ELi8EEEELi4ELNS_13LoopSchedulerE0ELNS_15PipelineVersionE2EfEEffNS6_IJPKfSO_EEEfSB_SB_SC_NS_16TensorDescriptorINS6_IJNS_5EmbedINS6_IJiiEEENS6_IJiNS_17integral_constantIiLi1EEEEEELb0EEENS_11PassThroughIiEESY_NS_7UnMergeINS6_IJiNST_IiLi8EEEEEELb0EEESY_EEENS6_IJNSG_IJLi0EEEENSG_IJLi1EEEENSG_IJLi2EEEENSG_IJLi4EEEENSG_IJLi3EEEEEEENS6_IJNSG_IJLi1ELi2EEEES18_S17_NSG_IJLi5ELi6EEEENSG_IJLi7EEEEEEENSG_IJLi5ELi7ELi6EEEElEES1F_NS6_IJNSQ_INS6_IJSW_SY_SY_NSZ_INS6_IJiNST_IiLi64EEEEEELb0EEES1I_EEENS6_IJS14_S15_S16_S18_S17_EEENS6_IJS1A_S18_S17_S1B_NSG_IJLi7ELi8EEEEEEENSG_IJLi5ELi6ELi7ELi8EEEElEES1O_EEES1O_NS_31BlockToCTileMap_M00_N0_M01AdaptILi64ELi64ENSQ_INS6_IJSW_SY_SY_EEENS6_IJS14_S15_S16_EEENS6_IJS1A_S18_S17_EEENSG_IJLi3ELi4EEEElEEiEELb1ELi2EEEvPKT0_PKT1_T2_PT3_T4_T5_T6_T7_T8_T9_T10_T11_
    .private_segment_fixed_size: 16
    .sgpr_count:     96
    .sgpr_spill_count: 0
    .symbol:         _ZN2ck51kernel_gemm_multiple_d_xdl_cshuffle_lds_direct_loadINS_48GridwiseGemmMultipleD_Xdl_CShuffle_LdsDirectLoadINS_13tensor_layout4gemm8RowMajorENS3_11ColumnMajorENS_5TupleIJS4_S4_EEES4_fffffNS6_IJffEEEfNS_16tensor_operation12element_wise11PassThroughESB_NSA_14AddAddFastGeluELNS_25InMemoryDataOperationEnumE0ELNS9_6device18GemmSpecializationE0ELi1ELi64ELi64ELi64ELi64ELi8ELi8ELi32ELi32ELi2ELi2ENS_8SequenceIJLi8ELi1ELi8EEEENSG_IJLi1ELi0ELi2EEEELi2ELi1ELi0ESH_SI_Li2ELi1ELi0ELi1ELi1ENSG_IJLi1ELi8ELi1ELi8EEEELi4ELNS_13LoopSchedulerE0ELNS_15PipelineVersionE2EfEEffNS6_IJPKfSO_EEEfSB_SB_SC_NS_16TensorDescriptorINS6_IJNS_5EmbedINS6_IJiiEEENS6_IJiNS_17integral_constantIiLi1EEEEEELb0EEENS_11PassThroughIiEESY_NS_7UnMergeINS6_IJiNST_IiLi8EEEEEELb0EEESY_EEENS6_IJNSG_IJLi0EEEENSG_IJLi1EEEENSG_IJLi2EEEENSG_IJLi4EEEENSG_IJLi3EEEEEEENS6_IJNSG_IJLi1ELi2EEEES18_S17_NSG_IJLi5ELi6EEEENSG_IJLi7EEEEEEENSG_IJLi5ELi7ELi6EEEElEES1F_NS6_IJNSQ_INS6_IJSW_SY_SY_NSZ_INS6_IJiNST_IiLi64EEEEEELb0EEES1I_EEENS6_IJS14_S15_S16_S18_S17_EEENS6_IJS1A_S18_S17_S1B_NSG_IJLi7ELi8EEEEEEENSG_IJLi5ELi6ELi7ELi8EEEElEES1O_EEES1O_NS_31BlockToCTileMap_M00_N0_M01AdaptILi64ELi64ENSQ_INS6_IJSW_SY_SY_EEENS6_IJS14_S15_S16_EEENS6_IJS1A_S18_S17_EEENSG_IJLi3ELi4EEEElEEiEELb1ELi2EEEvPKT0_PKT1_T2_PT3_T4_T5_T6_T7_T8_T9_T10_T11_.kd
    .uniform_work_group_size: 1
    .uses_dynamic_stack: false
    .vgpr_count:     256
    .vgpr_spill_count: 3
    .wavefront_size: 64
  - .agpr_count:     0
    .args:
      - .address_space:  global
        .offset:         0
        .size:           8
        .value_kind:     global_buffer
      - .address_space:  global
        .offset:         8
        .size:           8
        .value_kind:     global_buffer
      - .offset:         16
        .size:           16
        .value_kind:     by_value
      - .address_space:  global
        .offset:         32
        .size:           8
        .value_kind:     global_buffer
      - .offset:         40
        .size:           1
        .value_kind:     by_value
      - .offset:         41
        .size:           1
        .value_kind:     by_value
      - .offset:         42
        .size:           1
        .value_kind:     by_value
      - .offset:         48
        .size:           56
        .value_kind:     by_value
      - .offset:         104
        .size:           56
        .value_kind:     by_value
      - .offset:         160
        .size:           128
        .value_kind:     by_value
      - .offset:         288
        .size:           64
        .value_kind:     by_value
      - .offset:         352
        .size:           12
        .value_kind:     by_value
    .group_segment_fixed_size: 32768
    .kernarg_segment_align: 8
    .kernarg_segment_size: 364
    .language:       OpenCL C
    .language_version:
      - 2
      - 0
    .max_flat_workgroup_size: 64
    .name:           _ZN2ck51kernel_gemm_multiple_d_xdl_cshuffle_lds_direct_loadINS_48GridwiseGemmMultipleD_Xdl_CShuffle_LdsDirectLoadINS_13tensor_layout4gemm8RowMajorENS3_11ColumnMajorENS_5TupleIJS4_S4_EEES4_fffffNS6_IJffEEEfNS_16tensor_operation12element_wise11PassThroughESB_NSA_14AddAddFastGeluELNS_25InMemoryDataOperationEnumE0ELNS9_6device18GemmSpecializationE0ELi1ELi64ELi64ELi64ELi64ELi8ELi8ELi32ELi32ELi2ELi2ENS_8SequenceIJLi8ELi1ELi8EEEENSG_IJLi1ELi0ELi2EEEELi2ELi1ELi0ESH_SI_Li2ELi1ELi0ELi1ELi1ENSG_IJLi1ELi8ELi1ELi8EEEELi4ELNS_13LoopSchedulerE0ELNS_15PipelineVersionE2EfEEffNS6_IJPKfSO_EEEfSB_SB_SC_NS_16TensorDescriptorINS6_IJNS_5EmbedINS6_IJiiEEENS6_IJiNS_17integral_constantIiLi1EEEEEELb0EEENS_11PassThroughIiEESY_NS_7UnMergeINS6_IJiNST_IiLi8EEEEEELb0EEESY_EEENS6_IJNSG_IJLi0EEEENSG_IJLi1EEEENSG_IJLi2EEEENSG_IJLi4EEEENSG_IJLi3EEEEEEENS6_IJNSG_IJLi1ELi2EEEES18_S17_NSG_IJLi5ELi6EEEENSG_IJLi7EEEEEEENSG_IJLi5ELi7ELi6EEEElEES1F_NS6_IJNSQ_INS6_IJSW_SY_SY_NSZ_INS6_IJiNST_IiLi64EEEEEELb0EEES1I_EEENS6_IJS14_S15_S16_S18_S17_EEENS6_IJS1A_S18_S17_S1B_NSG_IJLi7ELi8EEEEEEENSG_IJLi5ELi6ELi7ELi8EEEElEES1O_EEES1O_NS_31BlockToCTileMap_M00_N0_M01AdaptILi64ELi64ENSQ_INS6_IJSW_SY_SY_EEENS6_IJS14_S15_S16_EEENS6_IJS1A_S18_S17_EEENSG_IJLi3ELi4EEEElEEiEELb0ELi2EEEvPKT0_PKT1_T2_PT3_T4_T5_T6_T7_T8_T9_T10_T11_
    .private_segment_fixed_size: 0
    .sgpr_count:     31
    .sgpr_spill_count: 0
    .symbol:         _ZN2ck51kernel_gemm_multiple_d_xdl_cshuffle_lds_direct_loadINS_48GridwiseGemmMultipleD_Xdl_CShuffle_LdsDirectLoadINS_13tensor_layout4gemm8RowMajorENS3_11ColumnMajorENS_5TupleIJS4_S4_EEES4_fffffNS6_IJffEEEfNS_16tensor_operation12element_wise11PassThroughESB_NSA_14AddAddFastGeluELNS_25InMemoryDataOperationEnumE0ELNS9_6device18GemmSpecializationE0ELi1ELi64ELi64ELi64ELi64ELi8ELi8ELi32ELi32ELi2ELi2ENS_8SequenceIJLi8ELi1ELi8EEEENSG_IJLi1ELi0ELi2EEEELi2ELi1ELi0ESH_SI_Li2ELi1ELi0ELi1ELi1ENSG_IJLi1ELi8ELi1ELi8EEEELi4ELNS_13LoopSchedulerE0ELNS_15PipelineVersionE2EfEEffNS6_IJPKfSO_EEEfSB_SB_SC_NS_16TensorDescriptorINS6_IJNS_5EmbedINS6_IJiiEEENS6_IJiNS_17integral_constantIiLi1EEEEEELb0EEENS_11PassThroughIiEESY_NS_7UnMergeINS6_IJiNST_IiLi8EEEEEELb0EEESY_EEENS6_IJNSG_IJLi0EEEENSG_IJLi1EEEENSG_IJLi2EEEENSG_IJLi4EEEENSG_IJLi3EEEEEEENS6_IJNSG_IJLi1ELi2EEEES18_S17_NSG_IJLi5ELi6EEEENSG_IJLi7EEEEEEENSG_IJLi5ELi7ELi6EEEElEES1F_NS6_IJNSQ_INS6_IJSW_SY_SY_NSZ_INS6_IJiNST_IiLi64EEEEEELb0EEES1I_EEENS6_IJS14_S15_S16_S18_S17_EEENS6_IJS1A_S18_S17_S1B_NSG_IJLi7ELi8EEEEEEENSG_IJLi5ELi6ELi7ELi8EEEElEES1O_EEES1O_NS_31BlockToCTileMap_M00_N0_M01AdaptILi64ELi64ENSQ_INS6_IJSW_SY_SY_EEENS6_IJS14_S15_S16_EEENS6_IJS1A_S18_S17_EEENSG_IJLi3ELi4EEEElEEiEELb0ELi2EEEvPKT0_PKT1_T2_PT3_T4_T5_T6_T7_T8_T9_T10_T11_.kd
    .uniform_work_group_size: 1
    .uses_dynamic_stack: false
    .vgpr_count:     151
    .vgpr_spill_count: 0
    .wavefront_size: 64
  - .agpr_count:     0
    .args:
      - .actual_access:  read_only
        .address_space:  global
        .offset:         0
        .size:           8
        .value_kind:     global_buffer
      - .actual_access:  read_only
        .address_space:  global
        .offset:         8
        .size:           8
        .value_kind:     global_buffer
      - .offset:         16
        .size:           16
        .value_kind:     by_value
      - .actual_access:  read_only
        .address_space:  global
        .offset:         32
        .size:           8
        .value_kind:     global_buffer
      - .offset:         40
        .size:           1
        .value_kind:     by_value
      - .offset:         41
        .size:           1
        .value_kind:     by_value
      - .offset:         42
        .size:           1
        .value_kind:     by_value
      - .offset:         48
        .size:           56
        .value_kind:     by_value
      - .offset:         104
        .size:           56
        .value_kind:     by_value
      - .offset:         160
        .size:           128
        .value_kind:     by_value
      - .offset:         288
        .size:           64
        .value_kind:     by_value
      - .offset:         352
        .size:           12
        .value_kind:     by_value
    .group_segment_fixed_size: 0
    .kernarg_segment_align: 8
    .kernarg_segment_size: 364
    .language:       OpenCL C
    .language_version:
      - 2
      - 0
    .max_flat_workgroup_size: 64
    .name:           _ZN2ck51kernel_gemm_multiple_d_xdl_cshuffle_lds_direct_loadINS_48GridwiseGemmMultipleD_Xdl_CShuffle_LdsDirectLoadINS_13tensor_layout4gemm8RowMajorENS3_11ColumnMajorENS_5TupleIJS4_S4_EEES4_fffffNS6_IJffEEEfNS_16tensor_operation12element_wise11PassThroughESB_NSA_14AddAddFastGeluELNS_25InMemoryDataOperationEnumE0ELNS9_6device18GemmSpecializationE0ELi1ELi64ELi64ELi64ELi64ELi8ELi8ELi16ELi16ELi4ELi2ENS_8SequenceIJLi8ELi1ELi8EEEENSG_IJLi1ELi0ELi2EEEELi2ELi1ELi0ESH_SI_Li2ELi1ELi0ELi2ELi2ENSG_IJLi1ELi8ELi1ELi8EEEELi4ELNS_13LoopSchedulerE0ELNS_15PipelineVersionE2EfEEffNS6_IJPKfSO_EEEfSB_SB_SC_NS_16TensorDescriptorINS6_IJNS_5EmbedINS6_IJiiEEENS6_IJiNS_17integral_constantIiLi1EEEEEELb0EEENS_11PassThroughIiEESY_NS_7UnMergeINS6_IJiNST_IiLi8EEEEEELb0EEESY_EEENS6_IJNSG_IJLi0EEEENSG_IJLi1EEEENSG_IJLi2EEEENSG_IJLi4EEEENSG_IJLi3EEEEEEENS6_IJNSG_IJLi1ELi2EEEES18_S17_NSG_IJLi5ELi6EEEENSG_IJLi7EEEEEEENSG_IJLi5ELi7ELi6EEEElEES1F_NS6_IJNSQ_INS6_IJSW_SY_SY_NSZ_INS6_IJiNST_IiLi64EEEEEELb0EEES1I_EEENS6_IJS14_S15_S16_S18_S17_EEENS6_IJS1A_S18_S17_S1B_NSG_IJLi7ELi8EEEEEEENSG_IJLi5ELi6ELi7ELi8EEEElEES1O_EEES1O_NS_31BlockToCTileMap_M00_N0_M01AdaptILi64ELi64ENSQ_INS6_IJSW_SY_SY_EEENS6_IJS14_S15_S16_EEENS6_IJS1A_S18_S17_EEENSG_IJLi3ELi4EEEElEEiEELb1ELi2EEEvPKT0_PKT1_T2_PT3_T4_T5_T6_T7_T8_T9_T10_T11_
    .private_segment_fixed_size: 0
    .sgpr_count:     4
    .sgpr_spill_count: 0
    .symbol:         _ZN2ck51kernel_gemm_multiple_d_xdl_cshuffle_lds_direct_loadINS_48GridwiseGemmMultipleD_Xdl_CShuffle_LdsDirectLoadINS_13tensor_layout4gemm8RowMajorENS3_11ColumnMajorENS_5TupleIJS4_S4_EEES4_fffffNS6_IJffEEEfNS_16tensor_operation12element_wise11PassThroughESB_NSA_14AddAddFastGeluELNS_25InMemoryDataOperationEnumE0ELNS9_6device18GemmSpecializationE0ELi1ELi64ELi64ELi64ELi64ELi8ELi8ELi16ELi16ELi4ELi2ENS_8SequenceIJLi8ELi1ELi8EEEENSG_IJLi1ELi0ELi2EEEELi2ELi1ELi0ESH_SI_Li2ELi1ELi0ELi2ELi2ENSG_IJLi1ELi8ELi1ELi8EEEELi4ELNS_13LoopSchedulerE0ELNS_15PipelineVersionE2EfEEffNS6_IJPKfSO_EEEfSB_SB_SC_NS_16TensorDescriptorINS6_IJNS_5EmbedINS6_IJiiEEENS6_IJiNS_17integral_constantIiLi1EEEEEELb0EEENS_11PassThroughIiEESY_NS_7UnMergeINS6_IJiNST_IiLi8EEEEEELb0EEESY_EEENS6_IJNSG_IJLi0EEEENSG_IJLi1EEEENSG_IJLi2EEEENSG_IJLi4EEEENSG_IJLi3EEEEEEENS6_IJNSG_IJLi1ELi2EEEES18_S17_NSG_IJLi5ELi6EEEENSG_IJLi7EEEEEEENSG_IJLi5ELi7ELi6EEEElEES1F_NS6_IJNSQ_INS6_IJSW_SY_SY_NSZ_INS6_IJiNST_IiLi64EEEEEELb0EEES1I_EEENS6_IJS14_S15_S16_S18_S17_EEENS6_IJS1A_S18_S17_S1B_NSG_IJLi7ELi8EEEEEEENSG_IJLi5ELi6ELi7ELi8EEEElEES1O_EEES1O_NS_31BlockToCTileMap_M00_N0_M01AdaptILi64ELi64ENSQ_INS6_IJSW_SY_SY_EEENS6_IJS14_S15_S16_EEENS6_IJS1A_S18_S17_EEENSG_IJLi3ELi4EEEElEEiEELb1ELi2EEEvPKT0_PKT1_T2_PT3_T4_T5_T6_T7_T8_T9_T10_T11_.kd
    .uniform_work_group_size: 1
    .uses_dynamic_stack: false
    .vgpr_count:     0
    .vgpr_spill_count: 0
    .wavefront_size: 64
  - .agpr_count:     0
    .args:
      - .actual_access:  read_only
        .address_space:  global
        .offset:         0
        .size:           8
        .value_kind:     global_buffer
      - .actual_access:  read_only
        .address_space:  global
        .offset:         8
        .size:           8
        .value_kind:     global_buffer
      - .offset:         16
        .size:           16
        .value_kind:     by_value
      - .actual_access:  read_only
        .address_space:  global
        .offset:         32
        .size:           8
        .value_kind:     global_buffer
      - .offset:         40
        .size:           1
        .value_kind:     by_value
      - .offset:         41
        .size:           1
        .value_kind:     by_value
      - .offset:         42
        .size:           1
        .value_kind:     by_value
      - .offset:         48
        .size:           56
        .value_kind:     by_value
      - .offset:         104
        .size:           56
        .value_kind:     by_value
      - .offset:         160
        .size:           128
        .value_kind:     by_value
      - .offset:         288
        .size:           64
        .value_kind:     by_value
      - .offset:         352
        .size:           12
        .value_kind:     by_value
    .group_segment_fixed_size: 0
    .kernarg_segment_align: 8
    .kernarg_segment_size: 364
    .language:       OpenCL C
    .language_version:
      - 2
      - 0
    .max_flat_workgroup_size: 64
    .name:           _ZN2ck51kernel_gemm_multiple_d_xdl_cshuffle_lds_direct_loadINS_48GridwiseGemmMultipleD_Xdl_CShuffle_LdsDirectLoadINS_13tensor_layout4gemm8RowMajorENS3_11ColumnMajorENS_5TupleIJS4_S4_EEES4_fffffNS6_IJffEEEfNS_16tensor_operation12element_wise11PassThroughESB_NSA_14AddAddFastGeluELNS_25InMemoryDataOperationEnumE0ELNS9_6device18GemmSpecializationE0ELi1ELi64ELi64ELi64ELi64ELi8ELi8ELi16ELi16ELi4ELi2ENS_8SequenceIJLi8ELi1ELi8EEEENSG_IJLi1ELi0ELi2EEEELi2ELi1ELi0ESH_SI_Li2ELi1ELi0ELi2ELi2ENSG_IJLi1ELi8ELi1ELi8EEEELi4ELNS_13LoopSchedulerE0ELNS_15PipelineVersionE2EfEEffNS6_IJPKfSO_EEEfSB_SB_SC_NS_16TensorDescriptorINS6_IJNS_5EmbedINS6_IJiiEEENS6_IJiNS_17integral_constantIiLi1EEEEEELb0EEENS_11PassThroughIiEESY_NS_7UnMergeINS6_IJiNST_IiLi8EEEEEELb0EEESY_EEENS6_IJNSG_IJLi0EEEENSG_IJLi1EEEENSG_IJLi2EEEENSG_IJLi4EEEENSG_IJLi3EEEEEEENS6_IJNSG_IJLi1ELi2EEEES18_S17_NSG_IJLi5ELi6EEEENSG_IJLi7EEEEEEENSG_IJLi5ELi7ELi6EEEElEES1F_NS6_IJNSQ_INS6_IJSW_SY_SY_NSZ_INS6_IJiNST_IiLi64EEEEEELb0EEES1I_EEENS6_IJS14_S15_S16_S18_S17_EEENS6_IJS1A_S18_S17_S1B_NSG_IJLi7ELi8EEEEEEENSG_IJLi5ELi6ELi7ELi8EEEElEES1O_EEES1O_NS_31BlockToCTileMap_M00_N0_M01AdaptILi64ELi64ENSQ_INS6_IJSW_SY_SY_EEENS6_IJS14_S15_S16_EEENS6_IJS1A_S18_S17_EEENSG_IJLi3ELi4EEEElEEiEELb0ELi2EEEvPKT0_PKT1_T2_PT3_T4_T5_T6_T7_T8_T9_T10_T11_
    .private_segment_fixed_size: 0
    .sgpr_count:     4
    .sgpr_spill_count: 0
    .symbol:         _ZN2ck51kernel_gemm_multiple_d_xdl_cshuffle_lds_direct_loadINS_48GridwiseGemmMultipleD_Xdl_CShuffle_LdsDirectLoadINS_13tensor_layout4gemm8RowMajorENS3_11ColumnMajorENS_5TupleIJS4_S4_EEES4_fffffNS6_IJffEEEfNS_16tensor_operation12element_wise11PassThroughESB_NSA_14AddAddFastGeluELNS_25InMemoryDataOperationEnumE0ELNS9_6device18GemmSpecializationE0ELi1ELi64ELi64ELi64ELi64ELi8ELi8ELi16ELi16ELi4ELi2ENS_8SequenceIJLi8ELi1ELi8EEEENSG_IJLi1ELi0ELi2EEEELi2ELi1ELi0ESH_SI_Li2ELi1ELi0ELi2ELi2ENSG_IJLi1ELi8ELi1ELi8EEEELi4ELNS_13LoopSchedulerE0ELNS_15PipelineVersionE2EfEEffNS6_IJPKfSO_EEEfSB_SB_SC_NS_16TensorDescriptorINS6_IJNS_5EmbedINS6_IJiiEEENS6_IJiNS_17integral_constantIiLi1EEEEEELb0EEENS_11PassThroughIiEESY_NS_7UnMergeINS6_IJiNST_IiLi8EEEEEELb0EEESY_EEENS6_IJNSG_IJLi0EEEENSG_IJLi1EEEENSG_IJLi2EEEENSG_IJLi4EEEENSG_IJLi3EEEEEEENS6_IJNSG_IJLi1ELi2EEEES18_S17_NSG_IJLi5ELi6EEEENSG_IJLi7EEEEEEENSG_IJLi5ELi7ELi6EEEElEES1F_NS6_IJNSQ_INS6_IJSW_SY_SY_NSZ_INS6_IJiNST_IiLi64EEEEEELb0EEES1I_EEENS6_IJS14_S15_S16_S18_S17_EEENS6_IJS1A_S18_S17_S1B_NSG_IJLi7ELi8EEEEEEENSG_IJLi5ELi6ELi7ELi8EEEElEES1O_EEES1O_NS_31BlockToCTileMap_M00_N0_M01AdaptILi64ELi64ENSQ_INS6_IJSW_SY_SY_EEENS6_IJS14_S15_S16_EEENS6_IJS1A_S18_S17_EEENSG_IJLi3ELi4EEEElEEiEELb0ELi2EEEvPKT0_PKT1_T2_PT3_T4_T5_T6_T7_T8_T9_T10_T11_.kd
    .uniform_work_group_size: 1
    .uses_dynamic_stack: false
    .vgpr_count:     0
    .vgpr_spill_count: 0
    .wavefront_size: 64
amdhsa.target:   amdgcn-amd-amdhsa--gfx90a
amdhsa.version:
  - 1
  - 2
...

	.end_amdgpu_metadata
